;; amdgpu-corpus repo=ROCm/rocFFT kind=compiled arch=gfx906 opt=O3
	.text
	.amdgcn_target "amdgcn-amd-amdhsa--gfx906"
	.amdhsa_code_object_version 6
	.protected	fft_rtc_back_len1092_factors_2_2_13_7_3_wgs_52_tpt_52_halfLds_dp_ip_CI_unitstride_sbrr_C2R_dirReg ; -- Begin function fft_rtc_back_len1092_factors_2_2_13_7_3_wgs_52_tpt_52_halfLds_dp_ip_CI_unitstride_sbrr_C2R_dirReg
	.globl	fft_rtc_back_len1092_factors_2_2_13_7_3_wgs_52_tpt_52_halfLds_dp_ip_CI_unitstride_sbrr_C2R_dirReg
	.p2align	8
	.type	fft_rtc_back_len1092_factors_2_2_13_7_3_wgs_52_tpt_52_halfLds_dp_ip_CI_unitstride_sbrr_C2R_dirReg,@function
fft_rtc_back_len1092_factors_2_2_13_7_3_wgs_52_tpt_52_halfLds_dp_ip_CI_unitstride_sbrr_C2R_dirReg: ; @fft_rtc_back_len1092_factors_2_2_13_7_3_wgs_52_tpt_52_halfLds_dp_ip_CI_unitstride_sbrr_C2R_dirReg
; %bb.0:
	s_load_dwordx2 s[12:13], s[4:5], 0x50
	s_load_dwordx4 s[8:11], s[4:5], 0x0
	s_load_dwordx2 s[2:3], s[4:5], 0x18
	v_mul_u32_u24_e32 v1, 0x4ed, v0
	v_add_u32_sdwa v5, s6, v1 dst_sel:DWORD dst_unused:UNUSED_PAD src0_sel:DWORD src1_sel:WORD_1
	v_mov_b32_e32 v3, 0
	s_waitcnt lgkmcnt(0)
	v_cmp_lt_u64_e64 s[0:1], s[10:11], 2
	v_mov_b32_e32 v1, 0
	v_mov_b32_e32 v6, v3
	s_and_b64 vcc, exec, s[0:1]
	v_mov_b32_e32 v2, 0
	s_cbranch_vccnz .LBB0_8
; %bb.1:
	s_load_dwordx2 s[0:1], s[4:5], 0x10
	s_add_u32 s6, s2, 8
	s_addc_u32 s7, s3, 0
	v_mov_b32_e32 v1, 0
	v_mov_b32_e32 v2, 0
	s_waitcnt lgkmcnt(0)
	s_add_u32 s14, s0, 8
	s_addc_u32 s15, s1, 0
	s_mov_b64 s[16:17], 1
.LBB0_2:                                ; =>This Inner Loop Header: Depth=1
	s_load_dwordx2 s[18:19], s[14:15], 0x0
                                        ; implicit-def: $vgpr7_vgpr8
	s_waitcnt lgkmcnt(0)
	v_or_b32_e32 v4, s19, v6
	v_cmp_ne_u64_e32 vcc, 0, v[3:4]
	s_and_saveexec_b64 s[0:1], vcc
	s_xor_b64 s[20:21], exec, s[0:1]
	s_cbranch_execz .LBB0_4
; %bb.3:                                ;   in Loop: Header=BB0_2 Depth=1
	v_cvt_f32_u32_e32 v4, s18
	v_cvt_f32_u32_e32 v7, s19
	s_sub_u32 s0, 0, s18
	s_subb_u32 s1, 0, s19
	v_mac_f32_e32 v4, 0x4f800000, v7
	v_rcp_f32_e32 v4, v4
	v_mul_f32_e32 v4, 0x5f7ffffc, v4
	v_mul_f32_e32 v7, 0x2f800000, v4
	v_trunc_f32_e32 v7, v7
	v_mac_f32_e32 v4, 0xcf800000, v7
	v_cvt_u32_f32_e32 v7, v7
	v_cvt_u32_f32_e32 v4, v4
	v_mul_lo_u32 v8, s0, v7
	v_mul_hi_u32 v9, s0, v4
	v_mul_lo_u32 v11, s1, v4
	v_mul_lo_u32 v10, s0, v4
	v_add_u32_e32 v8, v9, v8
	v_add_u32_e32 v8, v8, v11
	v_mul_hi_u32 v9, v4, v10
	v_mul_lo_u32 v11, v4, v8
	v_mul_hi_u32 v13, v4, v8
	v_mul_hi_u32 v12, v7, v10
	v_mul_lo_u32 v10, v7, v10
	v_mul_hi_u32 v14, v7, v8
	v_add_co_u32_e32 v9, vcc, v9, v11
	v_addc_co_u32_e32 v11, vcc, 0, v13, vcc
	v_mul_lo_u32 v8, v7, v8
	v_add_co_u32_e32 v9, vcc, v9, v10
	v_addc_co_u32_e32 v9, vcc, v11, v12, vcc
	v_addc_co_u32_e32 v10, vcc, 0, v14, vcc
	v_add_co_u32_e32 v8, vcc, v9, v8
	v_addc_co_u32_e32 v9, vcc, 0, v10, vcc
	v_add_co_u32_e32 v4, vcc, v4, v8
	v_addc_co_u32_e32 v7, vcc, v7, v9, vcc
	v_mul_lo_u32 v8, s0, v7
	v_mul_hi_u32 v9, s0, v4
	v_mul_lo_u32 v10, s1, v4
	v_mul_lo_u32 v11, s0, v4
	v_add_u32_e32 v8, v9, v8
	v_add_u32_e32 v8, v8, v10
	v_mul_lo_u32 v12, v4, v8
	v_mul_hi_u32 v13, v4, v11
	v_mul_hi_u32 v14, v4, v8
	;; [unrolled: 1-line block ×3, first 2 shown]
	v_mul_lo_u32 v11, v7, v11
	v_mul_hi_u32 v9, v7, v8
	v_add_co_u32_e32 v12, vcc, v13, v12
	v_addc_co_u32_e32 v13, vcc, 0, v14, vcc
	v_mul_lo_u32 v8, v7, v8
	v_add_co_u32_e32 v11, vcc, v12, v11
	v_addc_co_u32_e32 v10, vcc, v13, v10, vcc
	v_addc_co_u32_e32 v9, vcc, 0, v9, vcc
	v_add_co_u32_e32 v8, vcc, v10, v8
	v_addc_co_u32_e32 v9, vcc, 0, v9, vcc
	v_add_co_u32_e32 v4, vcc, v4, v8
	v_addc_co_u32_e32 v9, vcc, v7, v9, vcc
	v_mad_u64_u32 v[7:8], s[0:1], v5, v9, 0
	v_mul_hi_u32 v10, v5, v4
	v_add_co_u32_e32 v11, vcc, v10, v7
	v_addc_co_u32_e32 v12, vcc, 0, v8, vcc
	v_mad_u64_u32 v[7:8], s[0:1], v6, v4, 0
	v_mad_u64_u32 v[9:10], s[0:1], v6, v9, 0
	v_add_co_u32_e32 v4, vcc, v11, v7
	v_addc_co_u32_e32 v4, vcc, v12, v8, vcc
	v_addc_co_u32_e32 v7, vcc, 0, v10, vcc
	v_add_co_u32_e32 v4, vcc, v4, v9
	v_addc_co_u32_e32 v9, vcc, 0, v7, vcc
	v_mul_lo_u32 v10, s19, v4
	v_mul_lo_u32 v11, s18, v9
	v_mad_u64_u32 v[7:8], s[0:1], s18, v4, 0
	v_add3_u32 v8, v8, v11, v10
	v_sub_u32_e32 v10, v6, v8
	v_mov_b32_e32 v11, s19
	v_sub_co_u32_e32 v7, vcc, v5, v7
	v_subb_co_u32_e64 v10, s[0:1], v10, v11, vcc
	v_subrev_co_u32_e64 v11, s[0:1], s18, v7
	v_subbrev_co_u32_e64 v10, s[0:1], 0, v10, s[0:1]
	v_cmp_le_u32_e64 s[0:1], s19, v10
	v_cndmask_b32_e64 v12, 0, -1, s[0:1]
	v_cmp_le_u32_e64 s[0:1], s18, v11
	v_cndmask_b32_e64 v11, 0, -1, s[0:1]
	v_cmp_eq_u32_e64 s[0:1], s19, v10
	v_cndmask_b32_e64 v10, v12, v11, s[0:1]
	v_add_co_u32_e64 v11, s[0:1], 2, v4
	v_addc_co_u32_e64 v12, s[0:1], 0, v9, s[0:1]
	v_add_co_u32_e64 v13, s[0:1], 1, v4
	v_addc_co_u32_e64 v14, s[0:1], 0, v9, s[0:1]
	v_subb_co_u32_e32 v8, vcc, v6, v8, vcc
	v_cmp_ne_u32_e64 s[0:1], 0, v10
	v_cmp_le_u32_e32 vcc, s19, v8
	v_cndmask_b32_e64 v10, v14, v12, s[0:1]
	v_cndmask_b32_e64 v12, 0, -1, vcc
	v_cmp_le_u32_e32 vcc, s18, v7
	v_cndmask_b32_e64 v7, 0, -1, vcc
	v_cmp_eq_u32_e32 vcc, s19, v8
	v_cndmask_b32_e32 v7, v12, v7, vcc
	v_cmp_ne_u32_e32 vcc, 0, v7
	v_cndmask_b32_e64 v7, v13, v11, s[0:1]
	v_cndmask_b32_e32 v8, v9, v10, vcc
	v_cndmask_b32_e32 v7, v4, v7, vcc
.LBB0_4:                                ;   in Loop: Header=BB0_2 Depth=1
	s_andn2_saveexec_b64 s[0:1], s[20:21]
	s_cbranch_execz .LBB0_6
; %bb.5:                                ;   in Loop: Header=BB0_2 Depth=1
	v_cvt_f32_u32_e32 v4, s18
	s_sub_i32 s20, 0, s18
	v_rcp_iflag_f32_e32 v4, v4
	v_mul_f32_e32 v4, 0x4f7ffffe, v4
	v_cvt_u32_f32_e32 v4, v4
	v_mul_lo_u32 v7, s20, v4
	v_mul_hi_u32 v7, v4, v7
	v_add_u32_e32 v4, v4, v7
	v_mul_hi_u32 v4, v5, v4
	v_mul_lo_u32 v7, v4, s18
	v_add_u32_e32 v8, 1, v4
	v_sub_u32_e32 v7, v5, v7
	v_subrev_u32_e32 v9, s18, v7
	v_cmp_le_u32_e32 vcc, s18, v7
	v_cndmask_b32_e32 v7, v7, v9, vcc
	v_cndmask_b32_e32 v4, v4, v8, vcc
	v_add_u32_e32 v8, 1, v4
	v_cmp_le_u32_e32 vcc, s18, v7
	v_cndmask_b32_e32 v7, v4, v8, vcc
	v_mov_b32_e32 v8, v3
.LBB0_6:                                ;   in Loop: Header=BB0_2 Depth=1
	s_or_b64 exec, exec, s[0:1]
	v_mul_lo_u32 v4, v8, s18
	v_mul_lo_u32 v11, v7, s19
	v_mad_u64_u32 v[9:10], s[0:1], v7, s18, 0
	s_load_dwordx2 s[0:1], s[6:7], 0x0
	s_add_u32 s16, s16, 1
	v_add3_u32 v4, v10, v11, v4
	v_sub_co_u32_e32 v5, vcc, v5, v9
	v_subb_co_u32_e32 v4, vcc, v6, v4, vcc
	s_waitcnt lgkmcnt(0)
	v_mul_lo_u32 v4, s0, v4
	v_mul_lo_u32 v6, s1, v5
	v_mad_u64_u32 v[1:2], s[0:1], s0, v5, v[1:2]
	s_addc_u32 s17, s17, 0
	s_add_u32 s6, s6, 8
	v_add3_u32 v2, v6, v2, v4
	v_mov_b32_e32 v4, s10
	v_mov_b32_e32 v5, s11
	s_addc_u32 s7, s7, 0
	v_cmp_ge_u64_e32 vcc, s[16:17], v[4:5]
	s_add_u32 s14, s14, 8
	s_addc_u32 s15, s15, 0
	s_cbranch_vccnz .LBB0_9
; %bb.7:                                ;   in Loop: Header=BB0_2 Depth=1
	v_mov_b32_e32 v5, v7
	v_mov_b32_e32 v6, v8
	s_branch .LBB0_2
.LBB0_8:
	v_mov_b32_e32 v8, v6
	v_mov_b32_e32 v7, v5
.LBB0_9:
	s_lshl_b64 s[0:1], s[10:11], 3
	s_add_u32 s0, s2, s0
	s_addc_u32 s1, s3, s1
	s_load_dwordx2 s[2:3], s[0:1], 0x0
	s_load_dwordx2 s[6:7], s[4:5], 0x20
	s_waitcnt lgkmcnt(0)
	v_mad_u64_u32 v[1:2], s[0:1], s2, v7, v[1:2]
	v_mul_lo_u32 v3, s2, v8
	v_mul_lo_u32 v4, s3, v7
	s_mov_b32 s0, 0x4ec4ec5
	v_mul_hi_u32 v5, v0, s0
	v_cmp_gt_u64_e64 s[0:1], s[6:7], v[7:8]
	v_add3_u32 v2, v4, v2, v3
	v_lshlrev_b64 v[154:155], 4, v[1:2]
	v_mul_u32_u24_e32 v3, 52, v5
	v_sub_u32_e32 v152, v0, v3
	s_and_saveexec_b64 s[2:3], s[0:1]
	s_cbranch_execz .LBB0_13
; %bb.10:
	v_mov_b32_e32 v153, 0
	v_mov_b32_e32 v0, s13
	v_add_co_u32_e32 v1, vcc, s12, v154
	v_lshlrev_b64 v[2:3], 4, v[152:153]
	v_addc_co_u32_e32 v0, vcc, v0, v155, vcc
	v_add_co_u32_e32 v82, vcc, v1, v2
	v_addc_co_u32_e32 v83, vcc, v0, v3, vcc
	s_movk_i32 s4, 0x1000
	v_add_co_u32_e32 v58, vcc, s4, v82
	v_addc_co_u32_e32 v59, vcc, 0, v83, vcc
	s_movk_i32 s4, 0x2000
	;; [unrolled: 3-line block ×3, first 2 shown]
	v_add_co_u32_e32 v84, vcc, s4, v82
	global_load_dwordx4 v[2:5], v[82:83], off
	global_load_dwordx4 v[6:9], v[82:83], off offset:832
	global_load_dwordx4 v[10:13], v[82:83], off offset:1664
	;; [unrolled: 1-line block ×13, first 2 shown]
	v_addc_co_u32_e32 v85, vcc, 0, v83, vcc
	global_load_dwordx4 v[58:61], v[66:67], off offset:3456
	global_load_dwordx4 v[62:65], v[84:85], off offset:192
	v_or_b32_e32 v66, 0x340, v152
	v_mov_b32_e32 v67, v153
	v_lshlrev_b64 v[66:67], 4, v[66:67]
	v_add_co_u32_e32 v86, vcc, v1, v66
	v_addc_co_u32_e32 v87, vcc, v0, v67, vcc
	global_load_dwordx4 v[66:69], v[86:87], off
	global_load_dwordx4 v[70:73], v[84:85], off offset:3520
	global_load_dwordx4 v[74:77], v[84:85], off offset:1856
	;; [unrolled: 1-line block ×3, first 2 shown]
	v_add_co_u32_e32 v82, vcc, 0x4000, v82
	v_addc_co_u32_e32 v83, vcc, 0, v83, vcc
	global_load_dwordx4 v[82:85], v[82:83], off offset:256
	v_lshl_add_u32 v86, v152, 4, 0
	v_cmp_eq_u32_e32 vcc, 51, v152
	s_waitcnt vmcnt(20)
	ds_write_b128 v86, v[2:5]
	s_waitcnt vmcnt(19)
	ds_write_b128 v86, v[6:9] offset:832
	s_waitcnt vmcnt(18)
	ds_write_b128 v86, v[10:13] offset:1664
	;; [unrolled: 2-line block ×18, first 2 shown]
	ds_write_b128 v86, v[70:73] offset:15808
	s_waitcnt vmcnt(0)
	ds_write_b128 v86, v[82:85] offset:16640
	s_and_saveexec_b64 s[4:5], vcc
	s_cbranch_execz .LBB0_12
; %bb.11:
	v_add_co_u32_e32 v1, vcc, 0x4000, v1
	v_addc_co_u32_e32 v2, vcc, 0, v0, vcc
	global_load_dwordx4 v[0:3], v[1:2], off offset:1088
	v_mov_b32_e32 v152, 51
	s_waitcnt vmcnt(0)
	ds_write_b128 v153, v[0:3] offset:17472
.LBB0_12:
	s_or_b64 exec, exec, s[4:5]
.LBB0_13:
	s_or_b64 exec, exec, s[2:3]
	v_lshlrev_b32_e32 v0, 4, v152
	v_add_u32_e32 v196, 0, v0
	s_waitcnt lgkmcnt(0)
	; wave barrier
	s_waitcnt lgkmcnt(0)
	v_sub_u32_e32 v10, 0, v0
	ds_read_b64 v[6:7], v196
	ds_read_b64 v[8:9], v10 offset:17472
	s_add_u32 s4, s8, 0x4420
	s_addc_u32 s5, s9, 0
	v_cmp_ne_u32_e32 vcc, 0, v152
                                        ; implicit-def: $vgpr4_vgpr5
	s_waitcnt lgkmcnt(0)
	v_add_f64 v[0:1], v[6:7], v[8:9]
	v_add_f64 v[2:3], v[6:7], -v[8:9]
	s_and_saveexec_b64 s[2:3], vcc
	s_xor_b64 s[2:3], exec, s[2:3]
	s_cbranch_execz .LBB0_15
; %bb.14:
	v_mov_b32_e32 v153, 0
	v_lshlrev_b64 v[0:1], 4, v[152:153]
	v_mov_b32_e32 v2, s5
	v_add_co_u32_e32 v0, vcc, s4, v0
	v_addc_co_u32_e32 v1, vcc, v2, v1, vcc
	global_load_dwordx4 v[2:5], v[0:1], off
	ds_read_b64 v[0:1], v10 offset:17480
	ds_read_b64 v[11:12], v196 offset:8
	v_add_f64 v[13:14], v[6:7], v[8:9]
	v_add_f64 v[8:9], v[6:7], -v[8:9]
	s_waitcnt lgkmcnt(0)
	v_add_f64 v[15:16], v[0:1], v[11:12]
	v_add_f64 v[0:1], v[11:12], -v[0:1]
	s_waitcnt vmcnt(0)
	v_fma_f64 v[6:7], -v[8:9], v[4:5], v[13:14]
	v_fma_f64 v[11:12], v[15:16], v[4:5], -v[0:1]
	v_fma_f64 v[13:14], v[8:9], v[4:5], v[13:14]
	v_fma_f64 v[17:18], v[15:16], v[4:5], v[0:1]
	;; [unrolled: 1-line block ×4, first 2 shown]
	v_fma_f64 v[0:1], -v[15:16], v[2:3], v[13:14]
	v_fma_f64 v[2:3], v[8:9], v[2:3], v[17:18]
	ds_write_b128 v10, v[4:7] offset:17472
	v_mov_b32_e32 v4, v152
	v_mov_b32_e32 v5, v153
.LBB0_15:
	s_andn2_saveexec_b64 s[2:3], s[2:3]
	s_cbranch_execz .LBB0_17
; %bb.16:
	v_mov_b32_e32 v8, 0
	ds_read_b128 v[4:7], v8 offset:8736
	s_waitcnt lgkmcnt(0)
	v_add_f64 v[11:12], v[4:5], v[4:5]
	v_mul_f64 v[13:14], v[6:7], -2.0
	v_mov_b32_e32 v4, 0
	v_mov_b32_e32 v5, 0
	ds_write_b128 v8, v[11:14] offset:8736
.LBB0_17:
	s_or_b64 exec, exec, s[2:3]
	v_lshlrev_b64 v[4:5], 4, v[4:5]
	v_mov_b32_e32 v6, s5
	v_add_co_u32_e32 v4, vcc, s4, v4
	v_addc_co_u32_e32 v5, vcc, v6, v5, vcc
	global_load_dwordx4 v[6:9], v[4:5], off offset:832
	global_load_dwordx4 v[11:14], v[4:5], off offset:1664
	ds_write_b128 v196, v[0:3]
	ds_read_b128 v[0:3], v196 offset:832
	ds_read_b128 v[15:18], v10 offset:16640
	global_load_dwordx4 v[19:22], v[4:5], off offset:2496
	s_movk_i32 s2, 0x1000
	s_waitcnt lgkmcnt(0)
	v_add_f64 v[23:24], v[0:1], v[15:16]
	v_add_f64 v[25:26], v[17:18], v[2:3]
	v_add_f64 v[27:28], v[0:1], -v[15:16]
	v_add_f64 v[0:1], v[2:3], -v[17:18]
	s_waitcnt vmcnt(2)
	v_fma_f64 v[2:3], v[27:28], v[8:9], v[23:24]
	v_fma_f64 v[15:16], v[25:26], v[8:9], v[0:1]
	v_fma_f64 v[17:18], -v[27:28], v[8:9], v[23:24]
	v_fma_f64 v[8:9], v[25:26], v[8:9], -v[0:1]
	v_fma_f64 v[0:1], -v[25:26], v[6:7], v[2:3]
	v_fma_f64 v[2:3], v[27:28], v[6:7], v[15:16]
	v_fma_f64 v[15:16], v[25:26], v[6:7], v[17:18]
	v_fma_f64 v[17:18], v[27:28], v[6:7], v[8:9]
	ds_write_b128 v196, v[0:3] offset:832
	ds_write_b128 v10, v[15:18] offset:16640
	ds_read_b128 v[0:3], v196 offset:1664
	ds_read_b128 v[6:9], v10 offset:15808
	global_load_dwordx4 v[15:18], v[4:5], off offset:3328
	s_waitcnt lgkmcnt(0)
	v_add_f64 v[23:24], v[0:1], v[6:7]
	v_add_f64 v[25:26], v[8:9], v[2:3]
	v_add_f64 v[27:28], v[0:1], -v[6:7]
	v_add_f64 v[0:1], v[2:3], -v[8:9]
	s_waitcnt vmcnt(2)
	v_fma_f64 v[2:3], v[27:28], v[13:14], v[23:24]
	v_fma_f64 v[6:7], v[25:26], v[13:14], v[0:1]
	v_fma_f64 v[8:9], -v[27:28], v[13:14], v[23:24]
	v_fma_f64 v[13:14], v[25:26], v[13:14], -v[0:1]
	v_add_co_u32_e32 v23, vcc, s2, v4
	v_addc_co_u32_e32 v24, vcc, 0, v5, vcc
	v_fma_f64 v[0:1], -v[25:26], v[11:12], v[2:3]
	v_fma_f64 v[2:3], v[27:28], v[11:12], v[6:7]
	v_fma_f64 v[6:7], v[25:26], v[11:12], v[8:9]
	;; [unrolled: 1-line block ×3, first 2 shown]
	ds_write_b128 v196, v[0:3] offset:1664
	ds_write_b128 v10, v[6:9] offset:15808
	ds_read_b128 v[0:3], v196 offset:2496
	ds_read_b128 v[6:9], v10 offset:14976
	global_load_dwordx4 v[11:14], v[23:24], off offset:64
	v_cmp_gt_u32_e32 vcc, 26, v152
	s_waitcnt lgkmcnt(0)
	v_add_f64 v[25:26], v[0:1], v[6:7]
	v_add_f64 v[27:28], v[8:9], v[2:3]
	v_add_f64 v[29:30], v[0:1], -v[6:7]
	v_add_f64 v[0:1], v[2:3], -v[8:9]
	s_waitcnt vmcnt(2)
	v_fma_f64 v[2:3], v[29:30], v[21:22], v[25:26]
	v_fma_f64 v[6:7], v[27:28], v[21:22], v[0:1]
	v_fma_f64 v[8:9], -v[29:30], v[21:22], v[25:26]
	v_fma_f64 v[21:22], v[27:28], v[21:22], -v[0:1]
	v_fma_f64 v[0:1], -v[27:28], v[19:20], v[2:3]
	v_fma_f64 v[2:3], v[29:30], v[19:20], v[6:7]
	v_fma_f64 v[6:7], v[27:28], v[19:20], v[8:9]
	v_fma_f64 v[8:9], v[29:30], v[19:20], v[21:22]
	ds_write_b128 v196, v[0:3] offset:2496
	ds_write_b128 v10, v[6:9] offset:14976
	ds_read_b128 v[0:3], v196 offset:3328
	ds_read_b128 v[6:9], v10 offset:14144
	global_load_dwordx4 v[19:22], v[23:24], off offset:896
	s_waitcnt lgkmcnt(0)
	v_add_f64 v[25:26], v[0:1], v[6:7]
	v_add_f64 v[27:28], v[8:9], v[2:3]
	v_add_f64 v[29:30], v[0:1], -v[6:7]
	v_add_f64 v[0:1], v[2:3], -v[8:9]
	s_waitcnt vmcnt(2)
	v_fma_f64 v[2:3], v[29:30], v[17:18], v[25:26]
	v_fma_f64 v[6:7], v[27:28], v[17:18], v[0:1]
	v_fma_f64 v[8:9], -v[29:30], v[17:18], v[25:26]
	v_fma_f64 v[17:18], v[27:28], v[17:18], -v[0:1]
	v_fma_f64 v[0:1], -v[27:28], v[15:16], v[2:3]
	v_fma_f64 v[2:3], v[29:30], v[15:16], v[6:7]
	v_fma_f64 v[6:7], v[27:28], v[15:16], v[8:9]
	v_fma_f64 v[8:9], v[29:30], v[15:16], v[17:18]
	ds_write_b128 v196, v[0:3] offset:3328
	ds_write_b128 v10, v[6:9] offset:14144
	ds_read_b128 v[0:3], v196 offset:4160
	ds_read_b128 v[6:9], v10 offset:13312
	global_load_dwordx4 v[15:18], v[23:24], off offset:1728
	;; [unrolled: 19-line block ×4, first 2 shown]
	s_waitcnt lgkmcnt(0)
	v_add_f64 v[23:24], v[0:1], v[6:7]
	v_add_f64 v[25:26], v[8:9], v[2:3]
	v_add_f64 v[27:28], v[0:1], -v[6:7]
	v_add_f64 v[0:1], v[2:3], -v[8:9]
	s_waitcnt vmcnt(2)
	v_fma_f64 v[2:3], v[27:28], v[17:18], v[23:24]
	v_fma_f64 v[6:7], v[25:26], v[17:18], v[0:1]
	v_fma_f64 v[8:9], -v[27:28], v[17:18], v[23:24]
	v_fma_f64 v[17:18], v[25:26], v[17:18], -v[0:1]
	v_fma_f64 v[0:1], -v[25:26], v[15:16], v[2:3]
	v_fma_f64 v[2:3], v[27:28], v[15:16], v[6:7]
	v_fma_f64 v[6:7], v[25:26], v[15:16], v[8:9]
	;; [unrolled: 1-line block ×3, first 2 shown]
	ds_write_b128 v196, v[0:3] offset:5824
	ds_write_b128 v10, v[6:9] offset:11648
	ds_read_b128 v[0:3], v196 offset:6656
	ds_read_b128 v[6:9], v10 offset:10816
	s_waitcnt lgkmcnt(0)
	v_add_f64 v[15:16], v[0:1], v[6:7]
	v_add_f64 v[17:18], v[8:9], v[2:3]
	v_add_f64 v[23:24], v[0:1], -v[6:7]
	v_add_f64 v[0:1], v[2:3], -v[8:9]
	s_waitcnt vmcnt(1)
	v_fma_f64 v[2:3], v[23:24], v[13:14], v[15:16]
	v_fma_f64 v[6:7], v[17:18], v[13:14], v[0:1]
	v_fma_f64 v[8:9], -v[23:24], v[13:14], v[15:16]
	v_fma_f64 v[13:14], v[17:18], v[13:14], -v[0:1]
	v_fma_f64 v[0:1], -v[17:18], v[11:12], v[2:3]
	v_fma_f64 v[2:3], v[23:24], v[11:12], v[6:7]
	v_fma_f64 v[6:7], v[17:18], v[11:12], v[8:9]
	;; [unrolled: 1-line block ×3, first 2 shown]
	ds_write_b128 v196, v[0:3] offset:6656
	ds_write_b128 v10, v[6:9] offset:10816
	ds_read_b128 v[0:3], v196 offset:7488
	ds_read_b128 v[6:9], v10 offset:9984
	s_waitcnt lgkmcnt(0)
	v_add_f64 v[11:12], v[0:1], v[6:7]
	v_add_f64 v[13:14], v[8:9], v[2:3]
	v_add_f64 v[15:16], v[0:1], -v[6:7]
	v_add_f64 v[0:1], v[2:3], -v[8:9]
	s_waitcnt vmcnt(0)
	v_fma_f64 v[2:3], v[15:16], v[21:22], v[11:12]
	v_fma_f64 v[6:7], v[13:14], v[21:22], v[0:1]
	v_fma_f64 v[8:9], -v[15:16], v[21:22], v[11:12]
	v_fma_f64 v[11:12], v[13:14], v[21:22], -v[0:1]
	v_fma_f64 v[0:1], -v[13:14], v[19:20], v[2:3]
	v_fma_f64 v[2:3], v[15:16], v[19:20], v[6:7]
	v_fma_f64 v[6:7], v[13:14], v[19:20], v[8:9]
	;; [unrolled: 1-line block ×3, first 2 shown]
	ds_write_b128 v196, v[0:3] offset:7488
	ds_write_b128 v10, v[6:9] offset:9984
	s_and_saveexec_b64 s[4:5], vcc
	s_cbranch_execz .LBB0_19
; %bb.18:
	s_movk_i32 s2, 0x2000
	v_add_co_u32_e64 v0, s[2:3], s2, v4
	v_addc_co_u32_e64 v1, s[2:3], 0, v5, s[2:3]
	global_load_dwordx4 v[0:3], v[0:1], off offset:128
	ds_read_b128 v[4:7], v196 offset:8320
	ds_read_b128 v[11:14], v10 offset:9152
	s_waitcnt lgkmcnt(0)
	v_add_f64 v[8:9], v[4:5], v[11:12]
	v_add_f64 v[15:16], v[13:14], v[6:7]
	v_add_f64 v[11:12], v[4:5], -v[11:12]
	v_add_f64 v[4:5], v[6:7], -v[13:14]
	s_waitcnt vmcnt(0)
	v_fma_f64 v[6:7], v[11:12], v[2:3], v[8:9]
	v_fma_f64 v[13:14], v[15:16], v[2:3], v[4:5]
	v_fma_f64 v[8:9], -v[11:12], v[2:3], v[8:9]
	v_fma_f64 v[17:18], v[15:16], v[2:3], -v[4:5]
	v_fma_f64 v[2:3], -v[15:16], v[0:1], v[6:7]
	v_fma_f64 v[4:5], v[11:12], v[0:1], v[13:14]
	v_fma_f64 v[6:7], v[15:16], v[0:1], v[8:9]
	;; [unrolled: 1-line block ×3, first 2 shown]
	ds_write_b128 v196, v[2:5] offset:8320
	ds_write_b128 v10, v[6:9] offset:9152
.LBB0_19:
	s_or_b64 exec, exec, s[4:5]
	s_waitcnt lgkmcnt(0)
	; wave barrier
	s_waitcnt lgkmcnt(0)
	s_waitcnt lgkmcnt(0)
	; wave barrier
	s_waitcnt lgkmcnt(0)
	ds_read_b128 v[0:3], v196 offset:8736
	ds_read_b128 v[4:7], v196
	ds_read_b128 v[8:11], v196 offset:832
	ds_read_b128 v[12:15], v196 offset:8320
	;; [unrolled: 1-line block ×4, first 2 shown]
	v_lshl_add_u32 v88, v152, 5, 0
	s_waitcnt lgkmcnt(4)
	v_add_f64 v[0:1], v[4:5], -v[0:1]
	v_add_f64 v[2:3], v[6:7], -v[2:3]
	s_waitcnt lgkmcnt(1)
	v_add_f64 v[16:17], v[8:9], -v[16:17]
	v_add_f64 v[18:19], v[10:11], -v[18:19]
	ds_read_b128 v[24:27], v196 offset:1664
	ds_read_b128 v[28:31], v196 offset:2496
	;; [unrolled: 1-line block ×16, first 2 shown]
	s_waitcnt lgkmcnt(0)
	; wave barrier
	s_waitcnt lgkmcnt(0)
	v_fma_f64 v[4:5], v[4:5], 2.0, -v[0:1]
	v_fma_f64 v[6:7], v[6:7], 2.0, -v[2:3]
	v_fma_f64 v[8:9], v[8:9], 2.0, -v[16:17]
	v_fma_f64 v[10:11], v[10:11], 2.0, -v[18:19]
	ds_write_b128 v88, v[0:3] offset:16
	v_add_f64 v[0:1], v[28:29], -v[32:33]
	v_add_f64 v[2:3], v[30:31], -v[34:35]
	v_add_u32_e32 v157, 52, v152
	v_add_u32_e32 v153, 0x68, v152
	ds_write_b128 v88, v[4:7]
	v_add_f64 v[4:5], v[24:25], -v[20:21]
	v_add_f64 v[6:7], v[26:27], -v[22:23]
	v_lshl_add_u32 v20, v157, 5, 0
	ds_write_b128 v20, v[8:11]
	ds_write_b128 v20, v[16:19] offset:16
	v_add_f64 v[16:17], v[40:41], -v[36:37]
	v_add_f64 v[18:19], v[42:43], -v[38:39]
	v_fma_f64 v[20:21], v[28:29], 2.0, -v[0:1]
	v_fma_f64 v[8:9], v[24:25], 2.0, -v[4:5]
	;; [unrolled: 1-line block ×4, first 2 shown]
	v_lshl_add_u32 v24, v153, 5, 0
	ds_write_b128 v24, v[8:11]
	ds_write_b128 v24, v[4:7] offset:16
	v_add_u32_e32 v4, 0x9c, v152
	v_lshl_add_u32 v5, v4, 5, 0
	v_fma_f64 v[6:7], v[40:41], 2.0, -v[16:17]
	v_fma_f64 v[8:9], v[42:43], 2.0, -v[18:19]
	ds_write_b128 v5, v[20:23]
	v_add_f64 v[20:21], v[44:45], -v[48:49]
	v_add_f64 v[22:23], v[46:47], -v[50:51]
	ds_write_b128 v5, v[0:3] offset:16
	v_add_u32_e32 v5, 0xd0, v152
	v_lshl_add_u32 v11, v5, 5, 0
	v_add_f64 v[0:1], v[56:57], -v[52:53]
	v_add_f64 v[2:3], v[58:59], -v[54:55]
	ds_write_b128 v11, v[6:9]
	v_fma_f64 v[7:8], v[44:45], 2.0, -v[20:21]
	v_fma_f64 v[9:10], v[46:47], 2.0, -v[22:23]
	ds_write_b128 v11, v[16:19] offset:16
	v_add_f64 v[16:17], v[60:61], -v[64:65]
	v_add_f64 v[18:19], v[62:63], -v[66:67]
	v_add_u32_e32 v6, 0x104, v152
	v_fma_f64 v[24:25], v[56:57], 2.0, -v[0:1]
	v_fma_f64 v[26:27], v[58:59], 2.0, -v[2:3]
	v_lshl_add_u32 v11, v6, 5, 0
	ds_write_b128 v11, v[7:10]
	ds_write_b128 v11, v[20:23] offset:16
	v_add_u32_e32 v89, 0x138, v152
	v_fma_f64 v[7:8], v[60:61], 2.0, -v[16:17]
	v_fma_f64 v[9:10], v[62:63], 2.0, -v[18:19]
	v_lshl_add_u32 v11, v89, 5, 0
	v_add_u32_e32 v90, 0x16c, v152
	ds_write_b128 v11, v[24:27]
	v_add_f64 v[20:21], v[72:73], -v[68:69]
	ds_write_b128 v11, v[0:3] offset:16
	v_add_f64 v[22:23], v[74:75], -v[70:71]
	v_lshl_add_u32 v11, v90, 5, 0
	ds_write_b128 v11, v[7:10]
	v_add_f64 v[7:8], v[76:77], -v[80:81]
	v_add_f64 v[9:10], v[78:79], -v[82:83]
	;; [unrolled: 1-line block ×4, first 2 shown]
	v_fma_f64 v[24:25], v[72:73], 2.0, -v[20:21]
	v_fma_f64 v[26:27], v[74:75], 2.0, -v[22:23]
	ds_write_b128 v11, v[16:19] offset:16
	v_add_u32_e32 v92, 0x1a0, v152
	v_fma_f64 v[16:17], v[76:77], 2.0, -v[7:8]
	v_fma_f64 v[18:19], v[78:79], 2.0, -v[9:10]
	;; [unrolled: 1-line block ×4, first 2 shown]
	v_lshl_add_u32 v11, v92, 5, 0
	v_add_u32_e32 v93, 0x1d4, v152
	ds_write_b128 v11, v[24:27]
	ds_write_b128 v11, v[20:23] offset:16
	v_lshl_add_u32 v11, v93, 5, 0
	v_add_u32_e32 v88, 0x208, v152
	ds_write_b128 v11, v[16:19]
	ds_write_b128 v11, v[7:10] offset:16
	s_and_saveexec_b64 s[2:3], vcc
	s_cbranch_execz .LBB0_21
; %bb.20:
	v_lshl_add_u32 v7, v88, 5, 0
	ds_write_b128 v7, v[32:35]
	ds_write_b128 v7, v[0:3] offset:16
.LBB0_21:
	s_or_b64 exec, exec, s[2:3]
	v_lshlrev_b32_e32 v161, 1, v4
	v_lshlrev_b32_e32 v160, 1, v5
	;; [unrolled: 1-line block ×3, first 2 shown]
	s_waitcnt lgkmcnt(0)
	; wave barrier
	s_waitcnt lgkmcnt(0)
	ds_read_b128 v[8:11], v196
	ds_read_b128 v[12:15], v196 offset:832
	ds_read_b128 v[16:19], v196 offset:8736
	;; [unrolled: 1-line block ×19, first 2 shown]
	v_lshlrev_b32_e32 v156, 1, v152
	v_lshlrev_b32_e32 v163, 1, v157
	;; [unrolled: 1-line block ×7, first 2 shown]
	s_and_saveexec_b64 s[2:3], vcc
	s_cbranch_execz .LBB0_23
; %bb.22:
	ds_read_b128 v[32:35], v196 offset:8320
	ds_read_b128 v[0:3], v196 offset:17056
.LBB0_23:
	s_or_b64 exec, exec, s[2:3]
	v_and_b32_e32 v92, 1, v152
	v_lshlrev_b32_e32 v93, 4, v92
	global_load_dwordx4 v[93:96], v93, s[8:9]
	s_movk_i32 s3, 0x7c
	s_movk_i32 s4, 0xfc
	;; [unrolled: 1-line block ×4, first 2 shown]
	v_and_or_b32 v97, v156, s3, v92
	v_and_or_b32 v98, v163, s4, v92
	v_and_or_b32 v99, v162, s5, v92
	v_and_or_b32 v100, v161, s5, v92
	v_and_or_b32 v101, v160, s2, v92
	v_lshl_add_u32 v139, v97, 4, 0
	v_lshl_add_u32 v140, v98, 4, 0
	;; [unrolled: 1-line block ×5, first 2 shown]
	s_movk_i32 s3, 0x2fc
	s_waitcnt lgkmcnt(0)
	; wave barrier
	s_waitcnt vmcnt(0) lgkmcnt(0)
	v_mul_f64 v[97:98], v[18:19], v[95:96]
	v_mul_f64 v[99:100], v[16:17], v[95:96]
	;; [unrolled: 1-line block ×22, first 2 shown]
	v_fma_f64 v[16:17], v[16:17], v[93:94], v[97:98]
	v_fma_f64 v[18:19], v[18:19], v[93:94], -v[99:100]
	v_fma_f64 v[4:5], v[4:5], v[93:94], v[101:102]
	v_fma_f64 v[6:7], v[6:7], v[93:94], -v[103:104]
	;; [unrolled: 2-line block ×11, first 2 shown]
	v_add_f64 v[64:65], v[8:9], -v[16:17]
	v_add_f64 v[66:67], v[10:11], -v[18:19]
	;; [unrolled: 1-line block ×19, first 2 shown]
	v_fma_f64 v[93:94], v[8:9], 2.0, -v[64:65]
	v_fma_f64 v[95:96], v[10:11], 2.0, -v[66:67]
	v_add_f64 v[20:21], v[60:61], -v[117:118]
	v_add_f64 v[22:23], v[62:63], -v[119:120]
	;; [unrolled: 1-line block ×3, first 2 shown]
	v_fma_f64 v[97:98], v[12:13], 2.0, -v[68:69]
	v_fma_f64 v[99:100], v[14:15], 2.0, -v[70:71]
	;; [unrolled: 1-line block ×16, first 2 shown]
	ds_write_b128 v139, v[64:67] offset:32
	ds_write_b128 v139, v[93:96]
	ds_write_b128 v140, v[97:100]
	ds_write_b128 v140, v[68:71] offset:32
	ds_write_b128 v141, v[101:104]
	ds_write_b128 v141, v[72:75] offset:32
	ds_write_b128 v142, v[36:39]
	ds_write_b128 v142, v[76:79] offset:32
	ds_write_b128 v143, v[40:43]
	ds_write_b128 v143, v[80:83] offset:32
	v_and_or_b32 v36, v159, s3, v92
	v_lshl_add_u32 v36, v36, 4, 0
	v_fma_f64 v[24:25], v[60:61], 2.0, -v[20:21]
	v_fma_f64 v[26:27], v[62:63], 2.0, -v[22:23]
	;; [unrolled: 1-line block ×4, first 2 shown]
	ds_write_b128 v36, v[44:47]
	ds_write_b128 v36, v[84:87] offset:32
	v_and_or_b32 v36, v158, s3, v92
	v_lshl_add_u32 v36, v36, 4, 0
	ds_write_b128 v36, v[48:51]
	ds_write_b128 v36, v[0:3] offset:32
	v_and_or_b32 v36, v91, s2, v92
	v_lshl_add_u32 v36, v36, 4, 0
	;; [unrolled: 4-line block ×3, first 2 shown]
	s_movk_i32 s2, 0x7fc
	ds_write_b128 v36, v[12:15]
	ds_write_b128 v36, v[16:19] offset:32
	v_and_or_b32 v36, v89, s2, v92
	v_lshl_add_u32 v36, v36, 4, 0
	ds_write_b128 v36, v[24:27]
	ds_write_b128 v36, v[20:23] offset:32
	s_and_saveexec_b64 s[2:3], vcc
	s_cbranch_execz .LBB0_25
; %bb.24:
	v_lshlrev_b32_e32 v36, 1, v88
	s_movk_i32 s4, 0x47c
	v_and_or_b32 v36, v36, s4, v92
	v_lshl_add_u32 v36, v36, 4, 0
	ds_write_b128 v36, v[32:35]
	ds_write_b128 v36, v[28:31] offset:32
.LBB0_25:
	s_or_b64 exec, exec, s[2:3]
	s_waitcnt lgkmcnt(0)
	; wave barrier
	s_waitcnt lgkmcnt(0)
	ds_read_b128 v[100:103], v196
	ds_read_b128 v[148:151], v196 offset:1344
	ds_read_b128 v[144:147], v196 offset:2688
	ds_read_b128 v[140:143], v196 offset:4032
	ds_read_b128 v[132:135], v196 offset:5376
	ds_read_b128 v[128:131], v196 offset:6720
	ds_read_b128 v[124:127], v196 offset:8064
	ds_read_b128 v[120:123], v196 offset:9408
	ds_read_b128 v[116:119], v196 offset:10752
	ds_read_b128 v[112:115], v196 offset:12096
	ds_read_b128 v[108:111], v196 offset:13440
	ds_read_b128 v[104:107], v196 offset:14784
	ds_read_b128 v[136:139], v196 offset:16128
	v_cmp_gt_u32_e32 vcc, 32, v152
                                        ; implicit-def: $vgpr50_vgpr51
                                        ; implicit-def: $vgpr46_vgpr47
                                        ; implicit-def: $vgpr42_vgpr43
                                        ; implicit-def: $vgpr38_vgpr39
	s_and_saveexec_b64 s[2:3], vcc
	s_cbranch_execz .LBB0_27
; %bb.26:
	ds_read_b128 v[0:3], v196 offset:832
	ds_read_b128 v[8:11], v196 offset:2176
	;; [unrolled: 1-line block ×13, first 2 shown]
.LBB0_27:
	s_or_b64 exec, exec, s[2:3]
	v_and_b32_e32 v197, 3, v152
	v_mul_u32_u24_e32 v52, 12, v197
	v_lshlrev_b32_e32 v80, 4, v52
	global_load_dwordx4 v[60:63], v80, s[8:9] offset:32
	global_load_dwordx4 v[56:59], v80, s[8:9] offset:48
	;; [unrolled: 1-line block ×11, first 2 shown]
	s_nop 0
	global_load_dwordx4 v[80:83], v80, s[8:9] offset:192
	s_mov_b32 s4, 0x4267c47c
	s_mov_b32 s2, 0xe00740e9
	;; [unrolled: 1-line block ×36, first 2 shown]
	s_waitcnt lgkmcnt(0)
	; wave barrier
	s_waitcnt vmcnt(11) lgkmcnt(0)
	v_mul_f64 v[164:165], v[150:151], v[62:63]
	v_mul_f64 v[166:167], v[148:149], v[62:63]
	s_waitcnt vmcnt(10)
	v_mul_f64 v[168:169], v[146:147], v[58:59]
	v_mul_f64 v[170:171], v[144:145], v[58:59]
	s_waitcnt vmcnt(7)
	;; [unrolled: 3-line block ×3, first 2 shown]
	v_mul_f64 v[190:191], v[122:123], v[86:87]
	s_waitcnt vmcnt(4)
	v_mul_f64 v[188:189], v[136:137], v[78:79]
	v_mul_f64 v[198:199], v[138:139], v[78:79]
	;; [unrolled: 1-line block ×4, first 2 shown]
	s_waitcnt vmcnt(2)
	v_mul_f64 v[202:203], v[114:115], v[70:71]
	v_mul_f64 v[204:205], v[112:113], v[70:71]
	s_waitcnt vmcnt(1)
	v_mul_f64 v[206:207], v[110:111], v[74:75]
	v_mul_f64 v[208:209], v[108:109], v[74:75]
	;; [unrolled: 3-line block ×3, first 2 shown]
	v_fma_f64 v[148:149], v[148:149], v[60:61], v[164:165]
	v_fma_f64 v[150:151], v[150:151], v[60:61], -v[166:167]
	v_fma_f64 v[214:215], v[130:131], v[92:93], -v[182:183]
	;; [unrolled: 1-line block ×3, first 2 shown]
	v_fma_f64 v[182:183], v[120:121], v[84:85], v[190:191]
	v_fma_f64 v[190:191], v[136:137], v[76:77], v[198:199]
	v_mul_f64 v[174:175], v[140:141], v[54:55]
	v_mul_f64 v[180:181], v[130:131], v[94:95]
	;; [unrolled: 1-line block ×7, first 2 shown]
	v_fma_f64 v[144:145], v[144:145], v[56:57], v[168:169]
	v_fma_f64 v[146:147], v[146:147], v[56:57], -v[170:171]
	v_fma_f64 v[168:169], v[140:141], v[52:53], v[172:173]
	v_fma_f64 v[172:173], v[132:133], v[64:65], v[176:177]
	v_fma_f64 v[132:133], v[134:135], v[64:65], -v[178:179]
	v_fma_f64 v[134:135], v[112:113], v[68:69], v[202:203]
	v_fma_f64 v[136:137], v[114:115], v[68:69], -v[204:205]
	v_add_f64 v[112:113], v[150:151], -v[188:189]
	v_fma_f64 v[202:203], v[108:109], v[72:73], v[206:207]
	v_fma_f64 v[204:205], v[110:111], v[72:73], -v[208:209]
	v_fma_f64 v[206:207], v[104:105], v[80:81], v[210:211]
	v_fma_f64 v[208:209], v[106:107], v[80:81], -v[212:213]
	v_add_f64 v[104:105], v[148:149], v[190:191]
	v_add_f64 v[106:107], v[150:151], v[188:189]
	v_add_f64 v[108:109], v[148:149], -v[190:191]
	v_add_f64 v[148:149], v[100:101], v[148:149]
	v_add_f64 v[150:151], v[102:103], v[150:151]
	v_fma_f64 v[170:171], v[142:143], v[52:53], -v[174:175]
	v_fma_f64 v[174:175], v[128:129], v[92:93], v[180:181]
	v_fma_f64 v[180:181], v[124:125], v[88:89], v[184:185]
	v_fma_f64 v[184:185], v[126:127], v[88:89], -v[186:187]
	v_fma_f64 v[186:187], v[122:123], v[84:85], -v[192:193]
	v_fma_f64 v[198:199], v[116:117], v[96:97], v[194:195]
	v_fma_f64 v[200:201], v[118:119], v[96:97], -v[200:201]
	v_mul_f64 v[110:111], v[112:113], s[4:5]
	v_mul_f64 v[114:115], v[112:113], s[10:11]
	;; [unrolled: 1-line block ×7, first 2 shown]
	v_add_f64 v[148:149], v[148:149], v[144:145]
	v_add_f64 v[150:151], v[150:151], v[146:147]
	v_mul_f64 v[124:125], v[106:107], s[6:7]
	v_mul_f64 v[126:127], v[106:107], s[14:15]
	v_fma_f64 v[128:129], v[104:105], s[2:3], v[110:111]
	v_fma_f64 v[110:111], v[104:105], s[2:3], -v[110:111]
	v_fma_f64 v[130:131], v[104:105], s[6:7], v[114:115]
	v_fma_f64 v[114:115], v[104:105], s[6:7], -v[114:115]
	;; [unrolled: 2-line block ×6, first 2 shown]
	v_fma_f64 v[104:105], v[108:109], s[30:31], v[122:123]
	v_mul_f64 v[164:165], v[106:107], s[18:19]
	v_mul_f64 v[166:167], v[106:107], s[20:21]
	;; [unrolled: 1-line block ×3, first 2 shown]
	v_add_f64 v[148:149], v[148:149], v[168:169]
	v_add_f64 v[150:151], v[150:151], v[170:171]
	v_fma_f64 v[112:113], v[108:109], s[4:5], v[122:123]
	v_fma_f64 v[122:123], v[108:109], s[38:39], v[124:125]
	v_add_f64 v[232:233], v[102:103], v[104:105]
	v_fma_f64 v[124:125], v[108:109], s[10:11], v[124:125]
	v_fma_f64 v[142:143], v[108:109], s[34:35], v[126:127]
	;; [unrolled: 1-line block ×4, first 2 shown]
	v_add_f64 v[104:105], v[148:149], v[172:173]
	v_add_f64 v[106:107], v[150:151], v[132:133]
	v_fma_f64 v[126:127], v[108:109], s[16:17], v[126:127]
	v_fma_f64 v[218:219], v[108:109], s[40:41], v[164:165]
	v_add_f64 v[236:237], v[102:103], v[112:113]
	v_add_f64 v[240:241], v[102:103], v[122:123]
	;; [unrolled: 1-line block ×6, first 2 shown]
	v_add_f64 v[114:115], v[146:147], -v[208:209]
	v_add_f64 v[112:113], v[146:147], v[208:209]
	v_fma_f64 v[220:221], v[108:109], s[22:23], v[164:165]
	v_fma_f64 v[222:223], v[108:109], s[36:37], v[166:167]
	;; [unrolled: 1-line block ×3, first 2 shown]
	v_add_f64 v[194:195], v[102:103], v[124:125]
	v_add_f64 v[104:105], v[104:105], v[180:181]
	;; [unrolled: 1-line block ×8, first 2 shown]
	v_mul_f64 v[210:211], v[114:115], s[10:11]
	v_add_f64 v[122:123], v[104:105], v[182:183]
	v_add_f64 v[138:139], v[106:107], v[186:187]
	;; [unrolled: 1-line block ×3, first 2 shown]
	v_add_f64 v[106:107], v[144:145], -v[206:207]
	v_mul_f64 v[218:219], v[112:113], s[6:7]
	v_add_f64 v[126:127], v[170:171], -v[204:205]
	v_add_f64 v[124:125], v[170:171], v[204:205]
	v_add_f64 v[230:231], v[100:101], v[128:129]
	;; [unrolled: 1-line block ×9, first 2 shown]
	v_fma_f64 v[146:147], v[104:105], s[6:7], v[210:211]
	v_fma_f64 v[148:149], v[106:107], s[38:39], v[218:219]
	v_add_f64 v[120:121], v[168:169], v[202:203]
	v_add_f64 v[122:123], v[168:169], -v[202:203]
	v_mul_f64 v[220:221], v[126:127], s[16:17]
	v_mul_f64 v[222:223], v[124:125], s[14:15]
	v_add_f64 v[144:145], v[144:145], v[134:135]
	v_add_f64 v[150:151], v[138:139], v[136:137]
	v_add_f64 v[138:139], v[132:133], -v[136:137]
	v_add_f64 v[136:137], v[132:133], v[136:137]
	v_add_f64 v[234:235], v[100:101], v[110:111]
	;; [unrolled: 1-line block ×5, first 2 shown]
	v_fma_f64 v[170:171], v[120:121], s[14:15], v[220:221]
	v_fma_f64 v[224:225], v[122:123], s[34:35], v[222:223]
	v_add_f64 v[132:133], v[172:173], v[134:135]
	v_add_f64 v[134:135], v[172:173], -v[134:135]
	v_mul_f64 v[230:231], v[138:139], s[22:23]
	v_mul_f64 v[232:233], v[136:137], s[18:19]
	v_add_f64 v[172:173], v[144:145], v[202:203]
	v_add_f64 v[202:203], v[150:151], v[204:205]
	v_add_f64 v[150:151], v[214:215], -v[200:201]
	v_add_f64 v[148:149], v[214:215], v[200:201]
	v_add_f64 v[200:201], v[170:171], v[146:147]
	;; [unrolled: 1-line block ×3, first 2 shown]
	v_fma_f64 v[214:215], v[132:133], s[18:19], v[230:231]
	v_fma_f64 v[224:225], v[134:135], s[40:41], v[232:233]
	v_add_f64 v[144:145], v[174:175], v[198:199]
	v_add_f64 v[146:147], v[174:175], -v[198:199]
	v_mul_f64 v[198:199], v[150:151], s[26:27]
	v_mul_f64 v[242:243], v[148:149], s[20:21]
	v_add_f64 v[168:169], v[100:101], v[212:213]
	v_add_f64 v[206:207], v[172:173], v[206:207]
	v_add_f64 v[202:203], v[202:203], v[208:209]
	v_add_f64 v[200:201], v[214:215], v[200:201]
	v_add_f64 v[204:205], v[224:225], v[204:205]
	v_fma_f64 v[210:211], v[104:105], s[6:7], -v[210:211]
	v_fma_f64 v[208:209], v[144:145], s[20:21], v[198:199]
	v_fma_f64 v[212:213], v[146:147], s[36:37], v[242:243]
	;; [unrolled: 1-line block ×3, first 2 shown]
	v_add_f64 v[140:141], v[100:101], v[140:141]
	v_add_f64 v[170:171], v[102:103], v[226:227]
	;; [unrolled: 1-line block ×8, first 2 shown]
	v_add_f64 v[202:203], v[184:185], -v[186:187]
	v_add_f64 v[204:205], v[184:185], v[186:187]
	v_add_f64 v[186:187], v[210:211], v[234:235]
	;; [unrolled: 1-line block ×3, first 2 shown]
	v_fma_f64 v[206:207], v[120:121], s[14:15], -v[220:221]
	v_fma_f64 v[208:209], v[122:123], s[16:17], v[222:223]
	v_mul_f64 v[212:213], v[114:115], s[22:23]
	v_mul_f64 v[214:215], v[112:113], s[18:19]
	v_add_f64 v[184:185], v[180:181], v[182:183]
	v_add_f64 v[180:181], v[180:181], -v[182:183]
	v_mul_f64 v[182:183], v[202:203], s[28:29]
	v_mul_f64 v[210:211], v[204:205], s[24:25]
	v_add_f64 v[186:187], v[206:207], v[186:187]
	v_add_f64 v[200:201], v[208:209], v[200:201]
	v_fma_f64 v[206:207], v[132:133], s[18:19], -v[230:231]
	v_fma_f64 v[208:209], v[134:135], s[22:23], v[232:233]
	v_fma_f64 v[220:221], v[104:105], s[18:19], v[212:213]
	;; [unrolled: 1-line block ×3, first 2 shown]
	v_mul_f64 v[224:225], v[126:127], s[28:29]
	v_mul_f64 v[226:227], v[124:125], s[24:25]
	v_fma_f64 v[216:217], v[184:185], s[24:25], v[182:183]
	v_fma_f64 v[218:219], v[180:181], s[42:43], v[210:211]
	v_add_f64 v[206:207], v[206:207], v[186:187]
	v_add_f64 v[200:201], v[208:209], v[200:201]
	v_fma_f64 v[198:199], v[144:145], s[20:21], -v[198:199]
	v_fma_f64 v[208:209], v[146:147], s[26:27], v[242:243]
	v_add_f64 v[220:221], v[220:221], v[238:239]
	v_add_f64 v[222:223], v[222:223], v[240:241]
	v_fma_f64 v[228:229], v[120:121], s[24:25], v[224:225]
	v_fma_f64 v[230:231], v[122:123], s[42:43], v[226:227]
	v_mul_f64 v[232:233], v[138:139], s[36:37]
	v_mul_f64 v[234:235], v[136:137], s[20:21]
	v_add_f64 v[186:187], v[216:217], v[188:189]
	v_add_f64 v[188:189], v[218:219], v[190:191]
	;; [unrolled: 1-line block ×6, first 2 shown]
	v_fma_f64 v[208:209], v[132:133], s[20:21], v[232:233]
	v_fma_f64 v[216:217], v[134:135], s[26:27], v[234:235]
	v_mul_f64 v[218:219], v[150:151], s[34:35]
	v_fma_f64 v[182:183], v[184:185], s[24:25], -v[182:183]
	v_fma_f64 v[212:213], v[104:105], s[18:19], -v[212:213]
	v_fma_f64 v[214:215], v[106:107], s[22:23], v[214:215]
	v_mul_f64 v[220:221], v[148:149], s[14:15]
	v_fma_f64 v[210:211], v[180:181], s[28:29], v[210:211]
	v_add_f64 v[208:209], v[208:209], v[198:199]
	v_add_f64 v[206:207], v[216:217], v[206:207]
	v_fma_f64 v[216:217], v[144:145], s[14:15], v[218:219]
	v_add_f64 v[198:199], v[182:183], v[190:191]
	v_add_f64 v[182:183], v[212:213], v[192:193]
	;; [unrolled: 1-line block ×3, first 2 shown]
	v_fma_f64 v[192:193], v[120:121], s[24:25], -v[224:225]
	v_fma_f64 v[194:195], v[122:123], s[28:29], v[226:227]
	v_mul_f64 v[214:215], v[114:115], s[28:29]
	v_fma_f64 v[222:223], v[146:147], s[16:17], v[220:221]
	v_add_f64 v[208:209], v[216:217], v[208:209]
	v_mul_f64 v[216:217], v[112:113], s[24:25]
	v_add_f64 v[200:201], v[210:211], v[200:201]
	v_mul_f64 v[210:211], v[202:203], s[30:31]
	v_mul_f64 v[212:213], v[204:205], s[2:3]
	v_add_f64 v[182:183], v[192:193], v[182:183]
	v_add_f64 v[190:191], v[194:195], v[190:191]
	v_fma_f64 v[192:193], v[132:133], s[20:21], -v[232:233]
	v_fma_f64 v[194:195], v[134:135], s[36:37], v[234:235]
	v_fma_f64 v[226:227], v[104:105], s[24:25], v[214:215]
	;; [unrolled: 1-line block ×3, first 2 shown]
	v_mul_f64 v[230:231], v[126:127], s[40:41]
	v_mul_f64 v[232:233], v[124:125], s[18:19]
	v_add_f64 v[206:207], v[222:223], v[206:207]
	v_fma_f64 v[222:223], v[184:185], s[2:3], v[210:211]
	v_fma_f64 v[224:225], v[180:181], s[4:5], v[212:213]
	v_add_f64 v[182:183], v[192:193], v[182:183]
	v_add_f64 v[190:191], v[194:195], v[190:191]
	v_fma_f64 v[192:193], v[144:145], s[14:15], -v[218:219]
	v_fma_f64 v[194:195], v[146:147], s[34:35], v[220:221]
	v_add_f64 v[218:219], v[226:227], v[176:177]
	v_add_f64 v[220:221], v[228:229], v[178:179]
	v_fma_f64 v[226:227], v[120:121], s[18:19], v[230:231]
	v_fma_f64 v[228:229], v[122:123], s[22:23], v[232:233]
	v_mul_f64 v[234:235], v[138:139], s[30:31]
	v_mul_f64 v[236:237], v[136:137], s[2:3]
	v_add_f64 v[176:177], v[222:223], v[208:209]
	v_add_f64 v[178:179], v[224:225], v[206:207]
	;; [unrolled: 1-line block ×6, first 2 shown]
	v_fma_f64 v[206:207], v[132:133], s[2:3], v[234:235]
	v_fma_f64 v[208:209], v[134:135], s[4:5], v[236:237]
	v_mul_f64 v[218:219], v[150:151], s[10:11]
	v_fma_f64 v[210:211], v[184:185], s[2:3], -v[210:211]
	v_fma_f64 v[214:215], v[104:105], s[24:25], -v[214:215]
	v_fma_f64 v[216:217], v[106:107], s[28:29], v[216:217]
	v_mul_f64 v[220:221], v[148:149], s[6:7]
	v_fma_f64 v[212:213], v[180:181], s[30:31], v[212:213]
	v_add_f64 v[206:207], v[206:207], v[190:191]
	v_add_f64 v[194:195], v[208:209], v[194:195]
	v_fma_f64 v[208:209], v[144:145], s[6:7], v[218:219]
	v_add_f64 v[190:191], v[210:211], v[182:183]
	v_add_f64 v[164:165], v[214:215], v[164:165]
	;; [unrolled: 1-line block ×3, first 2 shown]
	v_fma_f64 v[182:183], v[120:121], s[18:19], -v[230:231]
	v_fma_f64 v[210:211], v[122:123], s[40:41], v[232:233]
	v_mul_f64 v[214:215], v[114:115], s[36:37]
	v_mul_f64 v[216:217], v[112:113], s[20:21]
	v_fma_f64 v[222:223], v[146:147], s[38:39], v[220:221]
	v_add_f64 v[192:193], v[212:213], v[192:193]
	v_add_f64 v[206:207], v[208:209], v[206:207]
	v_mul_f64 v[208:209], v[202:203], s[26:27]
	v_mul_f64 v[212:213], v[204:205], s[20:21]
	v_add_f64 v[164:165], v[182:183], v[164:165]
	v_add_f64 v[166:167], v[210:211], v[166:167]
	v_fma_f64 v[182:183], v[132:133], s[2:3], -v[234:235]
	v_fma_f64 v[210:211], v[134:135], s[30:31], v[236:237]
	v_fma_f64 v[226:227], v[104:105], s[20:21], v[214:215]
	;; [unrolled: 1-line block ×3, first 2 shown]
	v_mul_f64 v[230:231], v[126:127], s[30:31]
	v_mul_f64 v[232:233], v[124:125], s[2:3]
	v_add_f64 v[194:195], v[222:223], v[194:195]
	v_fma_f64 v[222:223], v[184:185], s[20:21], v[208:209]
	v_fma_f64 v[224:225], v[180:181], s[36:37], v[212:213]
	v_add_f64 v[164:165], v[182:183], v[164:165]
	v_add_f64 v[166:167], v[210:211], v[166:167]
	v_fma_f64 v[182:183], v[144:145], s[6:7], -v[218:219]
	v_fma_f64 v[210:211], v[146:147], s[10:11], v[220:221]
	v_add_f64 v[218:219], v[226:227], v[140:141]
	v_add_f64 v[220:221], v[228:229], v[142:143]
	v_fma_f64 v[226:227], v[120:121], s[2:3], v[230:231]
	v_fma_f64 v[228:229], v[122:123], s[4:5], v[232:233]
	v_mul_f64 v[234:235], v[138:139], s[16:17]
	v_mul_f64 v[236:237], v[136:137], s[14:15]
	v_add_f64 v[140:141], v[222:223], v[206:207]
	v_add_f64 v[142:143], v[224:225], v[194:195]
	;; [unrolled: 1-line block ×6, first 2 shown]
	v_fma_f64 v[206:207], v[132:133], s[14:15], v[234:235]
	v_fma_f64 v[210:211], v[134:135], s[34:35], v[236:237]
	v_mul_f64 v[218:219], v[150:151], s[42:43]
	v_mul_f64 v[220:221], v[148:149], s[24:25]
	v_fma_f64 v[214:215], v[104:105], s[20:21], -v[214:215]
	v_fma_f64 v[216:217], v[106:107], s[36:37], v[216:217]
	v_fma_f64 v[208:209], v[184:185], s[20:21], -v[208:209]
	v_fma_f64 v[212:213], v[180:181], s[26:27], v[212:213]
	v_add_f64 v[182:183], v[206:207], v[182:183]
	v_add_f64 v[194:195], v[210:211], v[194:195]
	v_fma_f64 v[206:207], v[144:145], s[24:25], v[218:219]
	v_fma_f64 v[210:211], v[146:147], s[28:29], v[220:221]
	v_add_f64 v[214:215], v[214:215], v[128:129]
	v_add_f64 v[216:217], v[216:217], v[130:131]
	v_fma_f64 v[222:223], v[120:121], s[2:3], -v[230:231]
	v_fma_f64 v[224:225], v[122:123], s[30:31], v[232:233]
	v_add_f64 v[128:129], v[208:209], v[164:165]
	v_add_f64 v[130:131], v[212:213], v[166:167]
	;; [unrolled: 1-line block ×4, first 2 shown]
	v_mul_f64 v[182:183], v[114:115], s[34:35]
	v_mul_f64 v[194:195], v[112:113], s[14:15]
	v_add_f64 v[206:207], v[222:223], v[214:215]
	v_add_f64 v[208:209], v[224:225], v[216:217]
	v_fma_f64 v[210:211], v[132:133], s[14:15], -v[234:235]
	v_fma_f64 v[212:213], v[134:135], s[16:17], v[236:237]
	v_mul_f64 v[226:227], v[126:127], s[10:11]
	v_mul_f64 v[228:229], v[124:125], s[6:7]
	v_fma_f64 v[222:223], v[104:105], s[14:15], v[182:183]
	v_fma_f64 v[224:225], v[106:107], s[16:17], v[194:195]
	v_mul_f64 v[234:235], v[150:151], s[30:31]
	v_mul_f64 v[236:237], v[148:149], s[2:3]
	v_add_f64 v[206:207], v[210:211], v[206:207]
	v_add_f64 v[208:209], v[212:213], v[208:209]
	v_fma_f64 v[210:211], v[144:145], s[24:25], -v[218:219]
	v_fma_f64 v[212:213], v[146:147], s[42:43], v[220:221]
	v_add_f64 v[116:117], v[222:223], v[116:117]
	v_add_f64 v[118:119], v[224:225], v[118:119]
	v_fma_f64 v[218:219], v[120:121], s[6:7], v[226:227]
	v_fma_f64 v[220:221], v[122:123], s[38:39], v[228:229]
	v_mul_f64 v[222:223], v[138:139], s[42:43]
	v_mul_f64 v[224:225], v[136:137], s[24:25]
	v_add_f64 v[206:207], v[210:211], v[206:207]
	v_add_f64 v[208:209], v[212:213], v[208:209]
	v_mul_f64 v[114:115], v[114:115], s[30:31]
	v_mul_f64 v[112:113], v[112:113], s[2:3]
	v_add_f64 v[210:211], v[218:219], v[116:117]
	v_add_f64 v[212:213], v[220:221], v[118:119]
	v_fma_f64 v[218:219], v[132:133], s[24:25], v[222:223]
	v_fma_f64 v[220:221], v[134:135], s[28:29], v[224:225]
	v_fma_f64 v[182:183], v[104:105], s[14:15], -v[182:183]
	v_fma_f64 v[194:195], v[106:107], s[34:35], v[194:195]
	v_mul_f64 v[214:215], v[202:203], s[38:39]
	v_mul_f64 v[216:217], v[204:205], s[6:7]
	v_add_f64 v[210:211], v[218:219], v[210:211]
	v_add_f64 v[212:213], v[220:221], v[212:213]
	v_fma_f64 v[218:219], v[144:145], s[2:3], v[234:235]
	v_fma_f64 v[220:221], v[146:147], s[4:5], v[236:237]
	v_add_f64 v[108:109], v[182:183], v[108:109]
	v_add_f64 v[110:111], v[194:195], v[110:111]
	v_fma_f64 v[230:231], v[184:185], s[6:7], v[214:215]
	v_fma_f64 v[232:233], v[180:181], s[10:11], v[216:217]
	v_fma_f64 v[214:215], v[184:185], s[6:7], -v[214:215]
	v_fma_f64 v[216:217], v[180:181], s[38:39], v[216:217]
	v_add_f64 v[210:211], v[218:219], v[210:211]
	v_add_f64 v[212:213], v[220:221], v[212:213]
	v_fma_f64 v[218:219], v[104:105], s[2:3], v[114:115]
	v_fma_f64 v[220:221], v[106:107], s[4:5], v[112:113]
	v_fma_f64 v[104:105], v[104:105], s[2:3], -v[114:115]
	v_fma_f64 v[106:107], v[106:107], s[30:31], v[112:113]
	v_mul_f64 v[112:113], v[126:127], s[26:27]
	v_mul_f64 v[114:115], v[124:125], s[20:21]
	v_add_f64 v[116:117], v[230:231], v[164:165]
	v_add_f64 v[118:119], v[232:233], v[166:167]
	;; [unrolled: 1-line block ×3, first 2 shown]
	v_fma_f64 v[168:169], v[120:121], s[6:7], -v[226:227]
	v_add_f64 v[104:105], v[104:105], v[172:173]
	v_add_f64 v[126:127], v[220:221], v[170:171]
	v_fma_f64 v[172:173], v[120:121], s[20:21], v[112:113]
	v_fma_f64 v[112:113], v[120:121], s[20:21], -v[112:113]
	v_mul_f64 v[120:121], v[138:139], s[38:39]
	v_fma_f64 v[170:171], v[122:123], s[10:11], v[228:229]
	v_add_f64 v[106:107], v[106:107], v[174:175]
	v_fma_f64 v[174:175], v[122:123], s[36:37], v[114:115]
	v_fma_f64 v[114:115], v[122:123], s[26:27], v[114:115]
	v_mul_f64 v[122:123], v[136:137], s[6:7]
	v_add_f64 v[108:109], v[168:169], v[108:109]
	v_add_f64 v[124:125], v[172:173], v[124:125]
	v_fma_f64 v[136:137], v[132:133], s[24:25], -v[222:223]
	v_add_f64 v[104:105], v[112:113], v[104:105]
	v_fma_f64 v[112:113], v[132:133], s[6:7], v[120:121]
	v_add_f64 v[110:111], v[170:171], v[110:111]
	v_add_f64 v[126:127], v[174:175], v[126:127]
	v_fma_f64 v[138:139], v[134:135], s[42:43], v[224:225]
	v_add_f64 v[106:107], v[114:115], v[106:107]
	v_fma_f64 v[114:115], v[134:135], s[10:11], v[122:123]
	v_fma_f64 v[120:121], v[132:133], s[6:7], -v[120:121]
	v_add_f64 v[108:109], v[136:137], v[108:109]
	v_mul_f64 v[132:133], v[150:151], s[22:23]
	v_add_f64 v[112:113], v[112:113], v[124:125]
	v_fma_f64 v[124:125], v[144:145], s[2:3], -v[234:235]
	v_fma_f64 v[122:123], v[134:135], s[38:39], v[122:123]
	v_add_f64 v[110:111], v[138:139], v[110:111]
	v_mul_f64 v[134:135], v[148:149], s[18:19]
	v_add_f64 v[114:115], v[114:115], v[126:127]
	v_fma_f64 v[126:127], v[146:147], s[30:31], v[236:237]
	v_add_f64 v[104:105], v[120:121], v[104:105]
	v_fma_f64 v[120:121], v[144:145], s[18:19], v[132:133]
	v_fma_f64 v[132:133], v[144:145], s[18:19], -v[132:133]
	v_add_f64 v[108:109], v[124:125], v[108:109]
	v_mul_f64 v[124:125], v[202:203], s[34:35]
	v_add_f64 v[164:165], v[214:215], v[206:207]
	v_add_f64 v[166:167], v[216:217], v[208:209]
	v_mul_f64 v[206:207], v[202:203], s[22:23]
	v_mul_f64 v[208:209], v[204:205], s[18:19]
	v_add_f64 v[106:107], v[122:123], v[106:107]
	v_fma_f64 v[122:123], v[146:147], s[40:41], v[134:135]
	v_add_f64 v[110:111], v[126:127], v[110:111]
	v_mul_f64 v[126:127], v[204:205], s[14:15]
	v_fma_f64 v[134:135], v[146:147], s[22:23], v[134:135]
	v_add_f64 v[112:113], v[120:121], v[112:113]
	v_add_f64 v[120:121], v[132:133], v[104:105]
	v_fma_f64 v[136:137], v[184:185], s[14:15], v[124:125]
	v_fma_f64 v[124:125], v[184:185], s[14:15], -v[124:125]
	v_fma_f64 v[214:215], v[184:185], s[18:19], v[206:207]
	v_fma_f64 v[216:217], v[180:181], s[40:41], v[208:209]
	v_add_f64 v[114:115], v[122:123], v[114:115]
	v_fma_f64 v[138:139], v[180:181], s[16:17], v[126:127]
	v_add_f64 v[122:123], v[134:135], v[106:107]
	v_fma_f64 v[126:127], v[180:181], s[34:35], v[126:127]
	v_fma_f64 v[132:133], v[184:185], s[18:19], -v[206:207]
	v_fma_f64 v[134:135], v[180:181], s[22:23], v[208:209]
	v_add_f64 v[120:121], v[124:125], v[120:121]
	v_lshrrev_b32_e32 v124, 2, v152
	v_add_f64 v[104:105], v[214:215], v[210:211]
	v_add_f64 v[106:107], v[216:217], v[212:213]
	v_mul_u32_u24_e32 v124, 52, v124
	v_add_f64 v[112:113], v[136:137], v[112:113]
	v_add_f64 v[114:115], v[138:139], v[114:115]
	v_or_b32_e32 v124, v124, v197
	v_add_f64 v[122:123], v[126:127], v[122:123]
	v_lshl_add_u32 v124, v124, 4, 0
	v_add_f64 v[108:109], v[132:133], v[108:109]
	v_add_f64 v[110:111], v[134:135], v[110:111]
	ds_write_b128 v124, v[100:103]
	ds_write_b128 v124, v[186:189] offset:64
	ds_write_b128 v124, v[176:179] offset:128
	;; [unrolled: 1-line block ×12, first 2 shown]
	s_and_saveexec_b64 s[44:45], vcc
	s_cbranch_execz .LBB0_29
; %bb.28:
	v_mul_f64 v[100:101], v[22:23], v[90:91]
	v_mul_f64 v[102:103], v[26:27], v[94:95]
	;; [unrolled: 1-line block ×7, first 2 shown]
	v_fma_f64 v[94:95], v[20:21], v[88:89], v[100:101]
	v_mul_f64 v[100:101], v[38:39], v[70:71]
	v_fma_f64 v[98:99], v[24:25], v[92:93], v[102:103]
	v_fma_f64 v[24:25], v[28:29], v[96:97], v[104:105]
	v_mul_f64 v[102:103], v[20:21], v[90:91]
	v_mul_f64 v[104:105], v[32:33], v[86:87]
	v_fma_f64 v[28:29], v[32:33], v[84:85], v[106:107]
	v_fma_f64 v[86:87], v[26:27], v[92:93], -v[108:109]
	v_fma_f64 v[26:27], v[30:31], v[96:97], -v[110:111]
	v_fma_f64 v[20:21], v[36:37], v[68:69], v[100:101]
	v_mul_f64 v[100:101], v[10:11], v[62:63]
	v_mul_f64 v[96:97], v[42:43], v[74:75]
	v_fma_f64 v[32:33], v[22:23], v[88:89], -v[102:103]
	v_fma_f64 v[30:31], v[34:35], v[84:85], -v[104:105]
	v_mul_f64 v[34:35], v[16:17], v[66:67]
	v_mul_f64 v[102:103], v[50:51], v[78:79]
	;; [unrolled: 1-line block ×5, first 2 shown]
	v_fma_f64 v[70:71], v[8:9], v[60:61], v[100:101]
	v_mul_f64 v[8:9], v[8:9], v[62:63]
	v_mul_f64 v[78:79], v[48:49], v[78:79]
	v_fma_f64 v[90:91], v[16:17], v[64:65], v[112:113]
	v_mul_f64 v[66:67], v[14:15], v[54:55]
	v_fma_f64 v[64:65], v[18:19], v[64:65], -v[34:35]
	v_fma_f64 v[34:35], v[40:41], v[72:73], v[96:97]
	v_fma_f64 v[18:19], v[48:49], v[76:77], v[102:103]
	;; [unrolled: 1-line block ×4, first 2 shown]
	v_mul_f64 v[4:5], v[4:5], v[58:59]
	v_mul_f64 v[44:45], v[44:45], v[82:83]
	v_fma_f64 v[96:97], v[10:11], v[60:61], -v[8:9]
	v_fma_f64 v[36:37], v[50:51], v[76:77], -v[78:79]
	v_fma_f64 v[66:67], v[12:13], v[52:53], v[66:67]
	v_mul_f64 v[12:13], v[12:13], v[54:55]
	v_add_f64 v[110:111], v[70:71], -v[18:19]
	v_mul_f64 v[8:9], v[40:41], v[74:75]
	v_fma_f64 v[50:51], v[6:7], v[56:57], -v[4:5]
	v_fma_f64 v[40:41], v[46:47], v[80:81], -v[44:45]
	v_add_f64 v[108:109], v[62:63], -v[48:49]
	v_add_f64 v[74:75], v[96:97], -v[36:37]
	v_add_f64 v[60:61], v[96:97], v[36:37]
	v_fma_f64 v[44:45], v[14:15], v[52:53], -v[12:13]
	v_mul_f64 v[4:5], v[110:111], s[28:29]
	v_fma_f64 v[42:43], v[42:43], v[72:73], -v[8:9]
	v_add_f64 v[72:73], v[70:71], v[18:19]
	v_add_f64 v[76:77], v[50:51], -v[40:41]
	v_add_f64 v[106:107], v[66:67], -v[34:35]
	v_mul_f64 v[8:9], v[74:75], s[28:29]
	v_mul_f64 v[6:7], v[108:109], s[30:31]
	v_add_f64 v[54:55], v[50:51], v[40:41]
	v_fma_f64 v[38:39], v[38:39], v[68:69], -v[104:105]
	v_fma_f64 v[10:11], v[60:61], s[24:25], v[4:5]
	v_add_f64 v[78:79], v[44:45], -v[42:43]
	v_add_f64 v[68:69], v[62:63], v[48:49]
	v_mul_f64 v[120:121], v[76:77], s[30:31]
	v_fma_f64 v[56:57], v[72:73], s[24:25], -v[8:9]
	v_add_f64 v[88:89], v[90:91], -v[20:21]
	v_mul_f64 v[12:13], v[106:107], s[26:27]
	v_add_f64 v[52:53], v[44:45], v[42:43]
	v_fma_f64 v[14:15], v[54:55], s[2:3], v[6:7]
	v_add_f64 v[10:11], v[2:3], v[10:11]
	v_add_f64 v[100:101], v[64:65], -v[38:39]
	v_add_f64 v[58:59], v[66:67], v[34:35]
	v_mul_f64 v[122:123], v[78:79], s[26:27]
	v_fma_f64 v[82:83], v[68:69], s[2:3], -v[120:121]
	v_add_f64 v[104:105], v[0:1], v[56:57]
	v_add_f64 v[92:93], v[98:99], -v[24:25]
	v_mul_f64 v[116:117], v[88:89], s[38:39]
	v_add_f64 v[46:47], v[64:65], v[38:39]
	v_fma_f64 v[80:81], v[52:53], s[20:21], v[12:13]
	v_add_f64 v[10:11], v[14:15], v[10:11]
	v_add_f64 v[102:103], v[86:87], -v[26:27]
	v_add_f64 v[56:57], v[90:91], v[20:21]
	v_mul_f64 v[124:125], v[100:101], s[38:39]
	v_fma_f64 v[126:127], v[58:59], s[20:21], -v[122:123]
	v_fma_f64 v[4:5], v[60:61], s[24:25], -v[4:5]
	v_add_f64 v[128:129], v[82:83], v[104:105]
	v_add_f64 v[84:85], v[94:95], -v[28:29]
	v_add_f64 v[22:23], v[86:87], v[26:27]
	v_mul_f64 v[112:113], v[92:93], s[22:23]
	v_fma_f64 v[14:15], v[46:47], s[6:7], v[116:117]
	v_add_f64 v[10:11], v[80:81], v[10:11]
	v_add_f64 v[104:105], v[32:33], -v[30:31]
	v_add_f64 v[82:83], v[98:99], v[24:25]
	v_mul_f64 v[130:131], v[102:103], s[22:23]
	v_fma_f64 v[132:133], v[56:57], s[6:7], -v[124:125]
	v_fma_f64 v[6:7], v[54:55], s[2:3], -v[6:7]
	v_add_f64 v[4:5], v[2:3], v[4:5]
	v_add_f64 v[126:127], v[126:127], v[128:129]
	;; [unrolled: 1-line block ×3, first 2 shown]
	v_mul_f64 v[114:115], v[84:85], s[34:35]
	v_fma_f64 v[118:119], v[22:23], s[18:19], v[112:113]
	v_add_f64 v[10:11], v[14:15], v[10:11]
	v_add_f64 v[80:81], v[94:95], v[28:29]
	v_mul_f64 v[14:15], v[104:105], s[34:35]
	v_fma_f64 v[128:129], v[82:83], s[18:19], -v[130:131]
	v_fma_f64 v[12:13], v[52:53], s[20:21], -v[12:13]
	v_add_f64 v[4:5], v[6:7], v[4:5]
	v_add_f64 v[6:7], v[132:133], v[126:127]
	v_fma_f64 v[8:9], v[72:73], s[24:25], v[8:9]
	v_fma_f64 v[126:127], v[16:17], s[14:15], v[114:115]
	v_add_f64 v[10:11], v[118:119], v[10:11]
	v_fma_f64 v[118:119], v[80:81], s[14:15], -v[14:15]
	v_fma_f64 v[116:117], v[46:47], s[6:7], -v[116:117]
	v_fma_f64 v[120:121], v[68:69], s[2:3], v[120:121]
	v_add_f64 v[4:5], v[12:13], v[4:5]
	v_add_f64 v[12:13], v[128:129], v[6:7]
	;; [unrolled: 1-line block ×3, first 2 shown]
	v_mul_f64 v[132:133], v[78:79], s[10:11]
	v_add_f64 v[6:7], v[126:127], v[10:11]
	v_fma_f64 v[10:11], v[22:23], s[18:19], -v[112:113]
	v_fma_f64 v[112:113], v[58:59], s[20:21], v[122:123]
	v_mul_f64 v[122:123], v[110:111], s[26:27]
	v_add_f64 v[116:117], v[116:117], v[4:5]
	v_add_f64 v[4:5], v[118:119], v[12:13]
	v_mul_f64 v[118:119], v[74:75], s[26:27]
	v_add_f64 v[8:9], v[120:121], v[8:9]
	v_fma_f64 v[12:13], v[16:17], s[14:15], -v[114:115]
	v_fma_f64 v[114:115], v[56:57], s[6:7], v[124:125]
	v_mul_f64 v[120:121], v[108:109], s[34:35]
	v_fma_f64 v[124:125], v[60:61], s[20:21], v[122:123]
	v_mul_f64 v[126:127], v[76:77], s[34:35]
	v_add_f64 v[10:11], v[10:11], v[116:117]
	v_fma_f64 v[128:129], v[72:73], s[20:21], -v[118:119]
	v_add_f64 v[8:9], v[112:113], v[8:9]
	v_fma_f64 v[112:113], v[82:83], s[18:19], v[130:131]
	v_mul_f64 v[116:117], v[106:107], s[10:11]
	v_fma_f64 v[130:131], v[54:55], s[14:15], v[120:121]
	v_add_f64 v[124:125], v[2:3], v[124:125]
	v_fma_f64 v[134:135], v[68:69], s[14:15], -v[126:127]
	v_fma_f64 v[122:123], v[60:61], s[20:21], -v[122:123]
	v_add_f64 v[128:129], v[0:1], v[128:129]
	v_add_f64 v[8:9], v[114:115], v[8:9]
	v_fma_f64 v[114:115], v[80:81], s[14:15], v[14:15]
	v_mul_f64 v[14:15], v[88:89], s[42:43]
	v_fma_f64 v[136:137], v[52:53], s[6:7], v[116:117]
	v_add_f64 v[124:125], v[130:131], v[124:125]
	v_mul_f64 v[130:131], v[100:101], s[42:43]
	v_fma_f64 v[138:139], v[58:59], s[6:7], -v[132:133]
	v_add_f64 v[128:129], v[134:135], v[128:129]
	v_mul_f64 v[140:141], v[102:103], s[30:31]
	v_fma_f64 v[120:121], v[54:55], s[14:15], -v[120:121]
	v_fma_f64 v[134:135], v[46:47], s[24:25], v[14:15]
	v_add_f64 v[122:123], v[2:3], v[122:123]
	v_add_f64 v[124:125], v[136:137], v[124:125]
	v_fma_f64 v[142:143], v[56:57], s[24:25], -v[130:131]
	v_add_f64 v[8:9], v[112:113], v[8:9]
	v_add_f64 v[128:129], v[138:139], v[128:129]
	v_mul_f64 v[112:113], v[92:93], s[30:31]
	v_fma_f64 v[116:117], v[52:53], s[6:7], -v[116:117]
	v_fma_f64 v[118:119], v[72:73], s[20:21], v[118:119]
	v_add_f64 v[120:121], v[120:121], v[122:123]
	v_add_f64 v[124:125], v[134:135], v[124:125]
	v_mul_f64 v[134:135], v[104:105], s[22:23]
	v_fma_f64 v[122:123], v[82:83], s[2:3], -v[140:141]
	v_add_f64 v[128:129], v[142:143], v[128:129]
	v_mul_f64 v[136:137], v[84:85], s[22:23]
	v_fma_f64 v[138:139], v[22:23], s[2:3], v[112:113]
	v_fma_f64 v[126:127], v[68:69], s[14:15], v[126:127]
	v_add_f64 v[118:119], v[0:1], v[118:119]
	v_add_f64 v[116:117], v[116:117], v[120:121]
	v_fma_f64 v[120:121], v[80:81], s[18:19], -v[134:135]
	v_fma_f64 v[112:113], v[22:23], s[2:3], -v[112:113]
	v_add_f64 v[122:123], v[122:123], v[128:129]
	v_fma_f64 v[142:143], v[16:17], s[18:19], v[136:137]
	v_add_f64 v[124:125], v[138:139], v[124:125]
	v_fma_f64 v[138:139], v[46:47], s[24:25], -v[14:15]
	v_add_f64 v[14:15], v[12:13], v[10:11]
	v_add_f64 v[12:13], v[114:115], v[8:9]
	v_fma_f64 v[114:115], v[58:59], s[6:7], v[132:133]
	v_add_f64 v[118:119], v[126:127], v[118:119]
	v_add_f64 v[8:9], v[120:121], v[122:123]
	v_mul_f64 v[120:121], v[110:111], s[22:23]
	v_add_f64 v[10:11], v[142:143], v[124:125]
	v_add_f64 v[116:117], v[138:139], v[116:117]
	v_fma_f64 v[124:125], v[56:57], s[24:25], v[130:131]
	v_mul_f64 v[126:127], v[74:75], s[22:23]
	v_fma_f64 v[122:123], v[16:17], s[18:19], -v[136:137]
	v_add_f64 v[114:115], v[114:115], v[118:119]
	v_mul_f64 v[118:119], v[108:109], s[36:37]
	v_fma_f64 v[128:129], v[60:61], s[18:19], v[120:121]
	v_fma_f64 v[120:121], v[60:61], s[18:19], -v[120:121]
	v_add_f64 v[112:113], v[112:113], v[116:117]
	v_fma_f64 v[116:117], v[80:81], s[18:19], v[134:135]
	v_mul_f64 v[132:133], v[76:77], s[36:37]
	v_fma_f64 v[134:135], v[72:73], s[18:19], -v[126:127]
	v_add_f64 v[114:115], v[124:125], v[114:115]
	v_mul_f64 v[124:125], v[106:107], s[30:31]
	v_fma_f64 v[136:137], v[54:55], s[20:21], v[118:119]
	v_fma_f64 v[118:119], v[54:55], s[20:21], -v[118:119]
	v_add_f64 v[120:121], v[2:3], v[120:121]
	v_fma_f64 v[130:131], v[82:83], s[2:3], v[140:141]
	v_add_f64 v[128:129], v[2:3], v[128:129]
	v_mul_f64 v[138:139], v[78:79], s[30:31]
	v_fma_f64 v[140:141], v[68:69], s[20:21], -v[132:133]
	v_add_f64 v[134:135], v[0:1], v[134:135]
	v_mul_f64 v[142:143], v[88:89], s[16:17]
	v_fma_f64 v[144:145], v[52:53], s[2:3], v[124:125]
	v_fma_f64 v[124:125], v[52:53], s[2:3], -v[124:125]
	v_add_f64 v[118:119], v[118:119], v[120:121]
	v_add_f64 v[128:129], v[136:137], v[128:129]
	v_mul_f64 v[136:137], v[100:101], s[16:17]
	v_fma_f64 v[146:147], v[58:59], s[2:3], -v[138:139]
	v_add_f64 v[134:135], v[140:141], v[134:135]
	v_mul_f64 v[120:121], v[92:93], s[42:43]
	v_fma_f64 v[140:141], v[46:47], s[14:15], v[142:143]
	v_fma_f64 v[142:143], v[46:47], s[14:15], -v[142:143]
	v_add_f64 v[118:119], v[124:125], v[118:119]
	;; [unrolled: 8-line block ×3, first 2 shown]
	v_add_f64 v[128:129], v[140:141], v[128:129]
	v_mul_f64 v[140:141], v[104:105], s[38:39]
	v_fma_f64 v[150:151], v[82:83], s[24:25], -v[144:145]
	v_add_f64 v[134:135], v[148:149], v[134:135]
	v_add_f64 v[130:131], v[130:131], v[114:115]
	v_fma_f64 v[142:143], v[16:17], s[6:7], v[124:125]
	v_fma_f64 v[126:127], v[72:73], s[18:19], v[126:127]
	v_fma_f64 v[124:125], v[16:17], s[6:7], -v[124:125]
	v_add_f64 v[120:121], v[120:121], v[118:119]
	v_add_f64 v[128:129], v[146:147], v[128:129]
	v_fma_f64 v[146:147], v[80:81], s[6:7], -v[140:141]
	v_add_f64 v[134:135], v[150:151], v[134:135]
	v_add_f64 v[114:115], v[122:123], v[112:113]
	;; [unrolled: 1-line block ×3, first 2 shown]
	v_fma_f64 v[130:131], v[68:69], s[20:21], v[132:133]
	v_mul_f64 v[132:133], v[110:111], s[16:17]
	v_add_f64 v[126:127], v[0:1], v[126:127]
	v_add_f64 v[122:123], v[124:125], v[120:121]
	v_mul_f64 v[124:125], v[74:75], s[16:17]
	v_add_f64 v[118:119], v[142:143], v[128:129]
	v_add_f64 v[116:117], v[146:147], v[134:135]
	v_fma_f64 v[120:121], v[58:59], s[2:3], v[138:139]
	v_mul_f64 v[128:129], v[108:109], s[28:29]
	v_fma_f64 v[134:135], v[60:61], s[14:15], v[132:133]
	v_add_f64 v[126:127], v[130:131], v[126:127]
	v_fma_f64 v[130:131], v[80:81], s[6:7], v[140:141]
	v_mul_f64 v[140:141], v[76:77], s[28:29]
	v_fma_f64 v[142:143], v[72:73], s[14:15], -v[124:125]
	v_fma_f64 v[136:137], v[56:57], s[14:15], v[136:137]
	v_mul_f64 v[148:149], v[78:79], s[40:41]
	v_fma_f64 v[146:147], v[54:55], s[24:25], v[128:129]
	v_add_f64 v[134:135], v[2:3], v[134:135]
	v_add_f64 v[120:121], v[120:121], v[126:127]
	v_fma_f64 v[132:133], v[60:61], s[14:15], -v[132:133]
	v_fma_f64 v[150:151], v[68:69], s[24:25], -v[140:141]
	v_add_f64 v[142:143], v[0:1], v[142:143]
	v_mul_f64 v[138:139], v[106:107], s[40:41]
	v_fma_f64 v[126:127], v[82:83], s[24:25], v[144:145]
	v_fma_f64 v[166:167], v[58:59], s[18:19], -v[148:149]
	v_add_f64 v[134:135], v[146:147], v[134:135]
	v_add_f64 v[120:121], v[136:137], v[120:121]
	v_mul_f64 v[146:147], v[100:101], s[30:31]
	v_fma_f64 v[128:129], v[54:55], s[24:25], -v[128:129]
	v_add_f64 v[142:143], v[150:151], v[142:143]
	v_add_f64 v[132:133], v[2:3], v[132:133]
	v_mul_f64 v[144:145], v[88:89], s[30:31]
	v_fma_f64 v[124:125], v[72:73], s[14:15], v[124:125]
	v_add_f64 v[96:97], v[2:3], v[96:97]
	v_add_f64 v[120:121], v[126:127], v[120:121]
	v_fma_f64 v[170:171], v[56:57], s[2:3], -v[146:147]
	v_fma_f64 v[126:127], v[52:53], s[18:19], -v[138:139]
	v_add_f64 v[142:143], v[166:167], v[142:143]
	v_add_f64 v[128:129], v[128:129], v[132:133]
	;; [unrolled: 1-line block ×3, first 2 shown]
	v_fma_f64 v[164:165], v[52:53], s[18:19], v[138:139]
	v_fma_f64 v[150:151], v[46:47], s[2:3], v[144:145]
	v_fma_f64 v[144:145], v[46:47], s[2:3], -v[144:145]
	v_fma_f64 v[140:141], v[68:69], s[24:25], v[140:141]
	v_add_f64 v[124:125], v[0:1], v[124:125]
	v_add_f64 v[142:143], v[170:171], v[142:143]
	;; [unrolled: 1-line block ×3, first 2 shown]
	v_mul_f64 v[170:171], v[74:75], s[10:11]
	v_add_f64 v[50:51], v[96:97], v[50:51]
	v_add_f64 v[62:63], v[70:71], v[62:63]
	v_mul_f64 v[136:137], v[92:93], s[10:11]
	v_add_f64 v[134:135], v[164:165], v[134:135]
	v_mul_f64 v[168:169], v[102:103], s[10:11]
	v_fma_f64 v[148:149], v[58:59], s[18:19], v[148:149]
	v_add_f64 v[126:127], v[144:145], v[126:127]
	v_mul_f64 v[144:145], v[76:77], s[22:23]
	v_fma_f64 v[174:175], v[72:73], s[6:7], -v[170:171]
	v_add_f64 v[124:125], v[140:141], v[124:125]
	v_add_f64 v[44:45], v[50:51], v[44:45]
	;; [unrolled: 1-line block ×3, first 2 shown]
	v_mul_f64 v[164:165], v[84:85], s[26:27]
	v_fma_f64 v[166:167], v[22:23], s[6:7], v[136:137]
	v_add_f64 v[134:135], v[150:151], v[134:135]
	v_mul_f64 v[132:133], v[104:105], s[26:27]
	v_fma_f64 v[138:139], v[82:83], s[6:7], -v[168:169]
	v_fma_f64 v[136:137], v[22:23], s[6:7], -v[136:137]
	v_mul_f64 v[180:181], v[78:79], s[28:29]
	v_fma_f64 v[182:183], v[68:69], s[18:19], -v[144:145]
	v_add_f64 v[174:175], v[0:1], v[174:175]
	v_fma_f64 v[146:147], v[56:57], s[2:3], v[146:147]
	v_add_f64 v[124:125], v[148:149], v[124:125]
	v_add_f64 v[44:45], v[44:45], v[64:65]
	;; [unrolled: 1-line block ×3, first 2 shown]
	v_fma_f64 v[150:151], v[16:17], s[20:21], v[164:165]
	v_add_f64 v[134:135], v[166:167], v[134:135]
	v_mul_f64 v[166:167], v[110:111], s[10:11]
	v_fma_f64 v[128:129], v[80:81], s[20:21], -v[132:133]
	v_add_f64 v[138:139], v[138:139], v[142:143]
	v_fma_f64 v[186:187], v[58:59], s[24:25], -v[180:181]
	v_add_f64 v[174:175], v[182:183], v[174:175]
	v_mul_f64 v[148:149], v[92:93], s[34:35]
	v_fma_f64 v[168:169], v[82:83], s[6:7], v[168:169]
	v_add_f64 v[124:125], v[146:147], v[124:125]
	v_fma_f64 v[164:165], v[16:17], s[20:21], -v[164:165]
	v_add_f64 v[136:137], v[136:137], v[126:127]
	v_mul_f64 v[110:111], v[110:111], s[4:5]
	v_add_f64 v[44:45], v[44:45], v[86:87]
	v_add_f64 v[50:51], v[50:51], v[98:99]
	v_mul_f64 v[74:75], v[74:75], s[4:5]
	v_mul_f64 v[142:143], v[108:109], s[22:23]
	v_fma_f64 v[172:173], v[60:61], s[6:7], v[166:167]
	v_add_f64 v[174:175], v[186:187], v[174:175]
	v_fma_f64 v[186:187], v[22:23], s[14:15], v[148:149]
	v_add_f64 v[168:169], v[168:169], v[124:125]
	v_add_f64 v[120:121], v[130:131], v[120:121]
	;; [unrolled: 1-line block ×5, first 2 shown]
	v_fma_f64 v[136:137], v[60:61], s[6:7], -v[166:167]
	v_fma_f64 v[138:139], v[22:23], s[14:15], -v[148:149]
	v_fma_f64 v[148:149], v[72:73], s[6:7], v[170:171]
	v_mul_f64 v[108:109], v[108:109], s[10:11]
	v_fma_f64 v[150:151], v[60:61], s[2:3], v[110:111]
	v_fma_f64 v[60:61], v[60:61], s[2:3], -v[110:111]
	v_add_f64 v[32:33], v[44:45], v[32:33]
	v_add_f64 v[44:45], v[50:51], v[94:95]
	v_mul_f64 v[76:77], v[76:77], s[10:11]
	v_fma_f64 v[50:51], v[72:73], s[2:3], v[74:75]
	v_mul_f64 v[176:177], v[106:107], s[28:29]
	v_fma_f64 v[178:179], v[54:55], s[18:19], v[142:143]
	v_add_f64 v[172:173], v[2:3], v[172:173]
	v_fma_f64 v[142:143], v[54:55], s[18:19], -v[142:143]
	v_add_f64 v[136:137], v[2:3], v[136:137]
	v_fma_f64 v[144:145], v[68:69], s[18:19], v[144:145]
	v_add_f64 v[148:149], v[0:1], v[148:149]
	v_mul_f64 v[106:107], v[106:107], s[16:17]
	v_fma_f64 v[166:167], v[54:55], s[6:7], v[108:109]
	v_add_f64 v[150:151], v[2:3], v[150:151]
	v_fma_f64 v[72:73], v[72:73], s[2:3], -v[74:75]
	v_fma_f64 v[54:55], v[54:55], s[6:7], -v[108:109]
	v_add_f64 v[2:3], v[2:3], v[60:61]
	v_add_f64 v[30:31], v[32:33], v[30:31]
	;; [unrolled: 1-line block ×3, first 2 shown]
	v_mul_f64 v[78:79], v[78:79], s[16:17]
	v_fma_f64 v[60:61], v[68:69], s[6:7], v[76:77]
	v_add_f64 v[32:33], v[0:1], v[50:51]
	v_mul_f64 v[140:141], v[88:89], s[36:37]
	v_fma_f64 v[184:185], v[52:53], s[24:25], v[176:177]
	v_add_f64 v[172:173], v[178:179], v[172:173]
	v_mul_f64 v[178:179], v[100:101], s[36:37]
	v_fma_f64 v[164:165], v[52:53], s[24:25], -v[176:177]
	v_add_f64 v[136:137], v[142:143], v[136:137]
	v_fma_f64 v[142:143], v[58:59], s[24:25], v[180:181]
	v_add_f64 v[144:145], v[144:145], v[148:149]
	v_mul_f64 v[88:89], v[88:89], s[22:23]
	v_fma_f64 v[44:45], v[68:69], s[6:7], -v[76:77]
	v_add_f64 v[0:1], v[0:1], v[72:73]
	v_fma_f64 v[50:51], v[52:53], s[14:15], -v[106:107]
	v_add_f64 v[2:3], v[54:55], v[2:3]
	v_add_f64 v[26:27], v[30:31], v[26:27]
	;; [unrolled: 1-line block ×3, first 2 shown]
	v_fma_f64 v[148:149], v[52:53], s[14:15], v[106:107]
	v_mul_f64 v[100:101], v[100:101], s[22:23]
	v_fma_f64 v[52:53], v[58:59], s[14:15], v[78:79]
	v_add_f64 v[28:29], v[60:61], v[32:33]
	v_fma_f64 v[182:183], v[46:47], s[20:21], v[140:141]
	v_add_f64 v[172:173], v[184:185], v[172:173]
	v_mul_f64 v[184:185], v[102:103], s[34:35]
	v_fma_f64 v[140:141], v[46:47], s[20:21], -v[140:141]
	v_add_f64 v[150:151], v[166:167], v[150:151]
	v_add_f64 v[70:71], v[164:165], v[136:137]
	v_fma_f64 v[96:97], v[56:57], s[20:21], v[178:179]
	v_add_f64 v[136:137], v[142:143], v[144:145]
	v_mul_f64 v[92:93], v[92:93], s[26:27]
	v_fma_f64 v[30:31], v[58:59], s[14:15], -v[78:79]
	v_add_f64 v[0:1], v[44:45], v[0:1]
	v_fma_f64 v[32:33], v[46:47], s[18:19], -v[88:89]
	v_add_f64 v[2:3], v[50:51], v[2:3]
	v_add_f64 v[26:27], v[26:27], v[38:39]
	;; [unrolled: 1-line block ×3, first 2 shown]
	v_mul_f64 v[98:99], v[102:103], s[26:27]
	v_fma_f64 v[44:45], v[56:57], s[18:19], v[100:101]
	v_add_f64 v[24:25], v[52:53], v[28:29]
	v_fma_f64 v[188:189], v[56:57], s[20:21], -v[178:179]
	v_mul_f64 v[146:147], v[84:85], s[30:31]
	v_fma_f64 v[142:143], v[46:47], s[18:19], v[88:89]
	v_add_f64 v[144:145], v[148:149], v[150:151]
	v_add_f64 v[62:63], v[140:141], v[70:71]
	v_fma_f64 v[66:67], v[82:83], s[14:15], v[184:185]
	v_add_f64 v[70:71], v[96:97], v[136:137]
	v_mul_f64 v[84:85], v[84:85], s[28:29]
	v_fma_f64 v[96:97], v[22:23], s[20:21], v[92:93]
	v_fma_f64 v[28:29], v[56:57], s[18:19], -v[100:101]
	v_add_f64 v[0:1], v[30:31], v[0:1]
	v_fma_f64 v[22:23], v[22:23], s[20:21], -v[92:93]
	v_add_f64 v[2:3], v[32:33], v[2:3]
	v_add_f64 v[26:27], v[26:27], v[42:43]
	;; [unrolled: 1-line block ×3, first 2 shown]
	v_mul_f64 v[86:87], v[104:105], s[28:29]
	v_fma_f64 v[30:31], v[82:83], s[20:21], v[98:99]
	v_add_f64 v[24:25], v[44:45], v[24:25]
	v_add_f64 v[172:173], v[182:183], v[172:173]
	v_mul_f64 v[182:183], v[104:105], s[30:31]
	v_fma_f64 v[190:191], v[82:83], s[14:15], -v[184:185]
	v_add_f64 v[174:175], v[188:189], v[174:175]
	v_fma_f64 v[188:189], v[16:17], s[2:3], v[146:147]
	v_add_f64 v[136:137], v[142:143], v[144:145]
	v_fma_f64 v[64:65], v[16:17], s[2:3], -v[146:147]
	v_add_f64 v[66:67], v[66:67], v[70:71]
	v_fma_f64 v[70:71], v[16:17], s[24:25], v[84:85]
	v_fma_f64 v[32:33], v[82:83], s[20:21], -v[98:99]
	v_add_f64 v[0:1], v[28:29], v[0:1]
	v_fma_f64 v[16:17], v[16:17], s[24:25], -v[84:85]
	v_add_f64 v[22:23], v[22:23], v[2:3]
	v_add_f64 v[26:27], v[26:27], v[40:41]
	;; [unrolled: 1-line block ×3, first 2 shown]
	v_fma_f64 v[28:29], v[80:81], s[24:25], v[86:87]
	v_add_f64 v[30:31], v[30:31], v[24:25]
	v_add_f64 v[62:63], v[138:139], v[62:63]
	v_fma_f64 v[90:91], v[80:81], s[2:3], v[182:183]
	v_fma_f64 v[132:133], v[80:81], s[20:21], v[132:133]
	v_add_f64 v[172:173], v[186:187], v[172:173]
	v_fma_f64 v[186:187], v[80:81], s[2:3], -v[182:183]
	v_add_f64 v[174:175], v[190:191], v[174:175]
	v_add_f64 v[96:97], v[96:97], v[136:137]
	v_fma_f64 v[38:39], v[80:81], s[24:25], -v[86:87]
	v_add_f64 v[32:33], v[32:33], v[0:1]
	v_add_f64 v[20:21], v[16:17], v[22:23]
	;; [unrolled: 1-line block ×8, first 2 shown]
	v_lshrrev_b32_e32 v16, 2, v157
	v_mul_u32_u24_e32 v16, 52, v16
	v_or_b32_e32 v16, v16, v197
	v_lshl_add_u32 v16, v16, 4, 0
	v_add_f64 v[134:135], v[188:189], v[172:173]
	v_add_f64 v[132:133], v[186:187], v[174:175]
	;; [unrolled: 1-line block ×4, first 2 shown]
	ds_write_b128 v16, v[22:25]
	ds_write_b128 v16, v[18:21] offset:64
	ds_write_b128 v16, v[0:3] offset:128
	;; [unrolled: 1-line block ×12, first 2 shown]
.LBB0_29:
	s_or_b64 exec, exec, s[44:45]
	v_mul_u32_u24_e32 v0, 6, v152
	v_lshlrev_b32_e32 v0, 4, v0
	s_waitcnt lgkmcnt(0)
	; wave barrier
	s_waitcnt lgkmcnt(0)
	global_load_dwordx4 v[1:4], v0, s[8:9] offset:800
	global_load_dwordx4 v[5:8], v0, s[8:9] offset:816
	;; [unrolled: 1-line block ×6, first 2 shown]
	s_movk_i32 s2, 0x4f
	v_mul_lo_u16_sdwa v0, v153, s2 dst_sel:DWORD dst_unused:UNUSED_PAD src0_sel:BYTE_0 src1_sel:DWORD
	v_lshrrev_b16_e32 v0, 12, v0
	v_mul_lo_u16_e32 v0, 52, v0
	v_sub_u16_e32 v0, v153, v0
	v_and_b32_e32 v0, 0xff, v0
	v_mul_u32_u24_e32 v25, 6, v0
	v_lshlrev_b32_e32 v49, 4, v25
	global_load_dwordx4 v[25:28], v49, s[8:9] offset:800
	global_load_dwordx4 v[29:32], v49, s[8:9] offset:816
	;; [unrolled: 1-line block ×6, first 2 shown]
	ds_read_b128 v[49:52], v196
	ds_read_b128 v[53:56], v196 offset:832
	ds_read_b128 v[57:60], v196 offset:4992
	;; [unrolled: 1-line block ×20, first 2 shown]
	s_mov_b32 s4, 0x37e14327
	s_mov_b32 s2, 0x36b3c0b5
	;; [unrolled: 1-line block ×20, first 2 shown]
	v_lshl_add_u32 v0, v0, 4, 0
	v_mov_b32_e32 v157, 0
	s_waitcnt lgkmcnt(0)
	; wave barrier
	s_waitcnt vmcnt(11) lgkmcnt(0)
	v_mul_f64 v[133:134], v[83:84], v[3:4]
	v_mul_f64 v[135:136], v[81:82], v[3:4]
	s_waitcnt vmcnt(10)
	v_mul_f64 v[137:138], v[59:60], v[7:8]
	v_mul_f64 v[139:140], v[57:58], v[7:8]
	s_waitcnt vmcnt(8)
	v_mul_f64 v[145:146], v[67:68], v[15:16]
	v_mul_f64 v[147:148], v[65:66], v[15:16]
	s_waitcnt vmcnt(7)
	v_mul_f64 v[149:150], v[115:116], v[19:20]
	v_mul_f64 v[164:165], v[113:114], v[19:20]
	s_waitcnt vmcnt(6)
	v_mul_f64 v[166:167], v[75:76], v[23:24]
	v_mul_f64 v[168:169], v[73:74], v[23:24]
	;; [unrolled: 1-line block ×10, first 2 shown]
	v_fma_f64 v[81:82], v[81:82], v[1:2], v[133:134]
	v_fma_f64 v[83:84], v[83:84], v[1:2], -v[135:136]
	v_fma_f64 v[57:58], v[57:58], v[5:6], v[137:138]
	v_fma_f64 v[59:60], v[59:60], v[5:6], -v[139:140]
	;; [unrolled: 2-line block ×7, first 2 shown]
	s_waitcnt vmcnt(4)
	v_mul_f64 v[1:2], v[103:104], v[31:32]
	v_mul_f64 v[3:4], v[101:102], v[31:32]
	s_waitcnt vmcnt(0)
	v_mul_f64 v[13:14], v[127:128], v[47:48]
	v_mul_f64 v[15:16], v[125:126], v[47:48]
	;; [unrolled: 1-line block ×10, first 2 shown]
	v_fma_f64 v[97:98], v[97:98], v[9:10], v[141:142]
	v_fma_f64 v[99:100], v[99:100], v[9:10], -v[143:144]
	v_fma_f64 v[105:106], v[105:106], v[9:10], v[174:175]
	v_fma_f64 v[107:108], v[107:108], v[9:10], -v[11:12]
	v_mul_f64 v[9:10], v[119:120], v[39:40]
	v_mul_f64 v[11:12], v[117:118], v[39:40]
	v_fma_f64 v[101:102], v[101:102], v[29:30], v[1:2]
	v_fma_f64 v[103:104], v[103:104], v[29:30], -v[3:4]
	v_fma_f64 v[125:126], v[125:126], v[45:46], v[13:14]
	v_fma_f64 v[127:128], v[127:128], v[45:46], -v[15:16]
	v_add_f64 v[1:2], v[81:82], v[73:74]
	v_add_f64 v[3:4], v[83:84], v[75:76]
	;; [unrolled: 1-line block ×4, first 2 shown]
	v_fma_f64 v[61:62], v[61:62], v[5:6], v[172:173]
	v_fma_f64 v[63:64], v[63:64], v[5:6], -v[7:8]
	v_fma_f64 v[121:122], v[121:122], v[17:18], v[178:179]
	v_fma_f64 v[123:124], v[123:124], v[17:18], -v[19:20]
	;; [unrolled: 2-line block ×4, first 2 shown]
	v_mul_f64 v[5:6], v[111:112], v[35:36]
	v_mul_f64 v[7:8], v[109:110], v[35:36]
	v_fma_f64 v[117:118], v[117:118], v[37:38], v[9:10]
	v_fma_f64 v[119:120], v[119:120], v[37:38], -v[11:12]
	v_add_f64 v[9:10], v[81:82], -v[73:74]
	v_add_f64 v[11:12], v[83:84], -v[75:76]
	;; [unrolled: 1-line block ×4, first 2 shown]
	v_add_f64 v[21:22], v[97:98], v[65:66]
	v_add_f64 v[23:24], v[99:100], v[67:68]
	v_add_f64 v[25:26], v[65:66], -v[97:98]
	v_add_f64 v[27:28], v[67:68], -v[99:100]
	v_add_f64 v[29:30], v[13:14], v[1:2]
	v_add_f64 v[31:32], v[15:16], v[3:4]
	v_fma_f64 v[109:110], v[109:110], v[33:34], v[5:6]
	v_fma_f64 v[111:112], v[111:112], v[33:34], -v[7:8]
	v_mul_f64 v[5:6], v[131:132], v[43:44]
	v_mul_f64 v[7:8], v[129:130], v[43:44]
	v_add_f64 v[33:34], v[13:14], -v[1:2]
	v_add_f64 v[35:36], v[15:16], -v[3:4]
	;; [unrolled: 1-line block ×6, first 2 shown]
	v_add_f64 v[1:2], v[25:26], v[17:18]
	v_add_f64 v[3:4], v[27:28], v[19:20]
	v_add_f64 v[43:44], v[25:26], -v[17:18]
	v_add_f64 v[45:46], v[27:28], -v[19:20]
	v_add_f64 v[21:22], v[21:22], v[29:30]
	v_add_f64 v[23:24], v[23:24], v[31:32]
	v_add_f64 v[17:18], v[17:18], -v[9:10]
	v_add_f64 v[19:20], v[19:20], -v[11:12]
	;; [unrolled: 1-line block ×4, first 2 shown]
	v_add_f64 v[9:10], v[1:2], v[9:10]
	v_add_f64 v[11:12], v[3:4], v[11:12]
	;; [unrolled: 1-line block ×4, first 2 shown]
	v_mul_f64 v[29:30], v[37:38], s[4:5]
	v_mul_f64 v[31:32], v[39:40], s[4:5]
	;; [unrolled: 1-line block ×8, first 2 shown]
	v_fma_f64 v[21:22], v[21:22], s[14:15], v[1:2]
	v_fma_f64 v[23:24], v[23:24], s[14:15], v[3:4]
	;; [unrolled: 1-line block ×4, first 2 shown]
	v_fma_f64 v[37:38], v[33:34], s[16:17], -v[37:38]
	v_fma_f64 v[39:40], v[35:36], s[16:17], -v[39:40]
	;; [unrolled: 1-line block ×4, first 2 shown]
	v_fma_f64 v[33:34], v[25:26], s[20:21], v[43:44]
	v_fma_f64 v[35:36], v[27:28], s[20:21], v[45:46]
	v_fma_f64 v[17:18], v[17:18], s[6:7], -v[43:44]
	v_fma_f64 v[19:20], v[19:20], s[6:7], -v[45:46]
	;; [unrolled: 1-line block ×4, first 2 shown]
	v_add_f64 v[43:44], v[13:14], v[21:22]
	v_add_f64 v[45:46], v[15:16], v[23:24]
	;; [unrolled: 1-line block ×6, first 2 shown]
	v_fma_f64 v[31:32], v[9:10], s[22:23], v[33:34]
	v_fma_f64 v[27:28], v[11:12], s[22:23], v[27:28]
	;; [unrolled: 1-line block ×7, first 2 shown]
	v_fma_f64 v[59:60], v[131:132], v[41:42], -v[7:8]
	v_add_f64 v[35:36], v[91:92], -v[79:80]
	v_add_f64 v[9:10], v[27:28], v[21:22]
	v_add_f64 v[11:12], v[23:24], -v[25:26]
	v_add_f64 v[13:14], v[37:38], -v[19:20]
	v_add_f64 v[15:16], v[33:34], v[39:40]
	v_add_f64 v[17:18], v[19:20], v[37:38]
	v_add_f64 v[19:20], v[39:40], -v[33:34]
	v_add_f64 v[21:22], v[21:22], -v[27:28]
	v_add_f64 v[23:24], v[25:26], v[23:24]
	v_add_f64 v[25:26], v[89:90], v[77:78]
	;; [unrolled: 1-line block ×5, first 2 shown]
	v_add_f64 v[33:34], v[89:90], -v[77:78]
	v_add_f64 v[41:42], v[61:62], -v[121:122]
	;; [unrolled: 1-line block ×3, first 2 shown]
	v_add_f64 v[49:50], v[105:106], v[69:70]
	v_add_f64 v[51:52], v[107:108], v[71:72]
	v_add_f64 v[61:62], v[69:70], -v[105:106]
	v_add_f64 v[63:64], v[71:72], -v[107:108]
	v_add_f64 v[65:66], v[37:38], v[25:26]
	v_add_f64 v[67:68], v[39:40], v[27:28]
	v_add_f64 v[69:70], v[37:38], -v[25:26]
	v_add_f64 v[71:72], v[39:40], -v[27:28]
	;; [unrolled: 1-line block ×6, first 2 shown]
	v_add_f64 v[25:26], v[61:62], v[41:42]
	v_add_f64 v[27:28], v[63:64], v[47:48]
	v_add_f64 v[77:78], v[61:62], -v[41:42]
	v_add_f64 v[79:80], v[63:64], -v[47:48]
	v_add_f64 v[49:50], v[49:50], v[65:66]
	v_add_f64 v[51:52], v[51:52], v[67:68]
	v_add_f64 v[41:42], v[41:42], -v[33:34]
	v_add_f64 v[47:48], v[47:48], -v[35:36]
	;; [unrolled: 1-line block ×4, first 2 shown]
	v_add_f64 v[33:34], v[25:26], v[33:34]
	v_add_f64 v[35:36], v[27:28], v[35:36]
	;; [unrolled: 1-line block ×4, first 2 shown]
	v_mul_f64 v[53:54], v[73:74], s[4:5]
	v_mul_f64 v[55:56], v[75:76], s[4:5]
	;; [unrolled: 1-line block ×8, first 2 shown]
	v_fma_f64 v[49:50], v[49:50], s[14:15], v[25:26]
	v_fma_f64 v[51:52], v[51:52], s[14:15], v[27:28]
	;; [unrolled: 1-line block ×4, first 2 shown]
	v_fma_f64 v[65:66], v[69:70], s[16:17], -v[65:66]
	v_fma_f64 v[67:68], v[71:72], s[16:17], -v[67:68]
	;; [unrolled: 1-line block ×4, first 2 shown]
	v_fma_f64 v[69:70], v[61:62], s[20:21], v[73:74]
	v_fma_f64 v[71:72], v[63:64], s[20:21], v[75:76]
	v_fma_f64 v[41:42], v[41:42], s[6:7], -v[73:74]
	v_fma_f64 v[47:48], v[47:48], s[6:7], -v[75:76]
	;; [unrolled: 1-line block ×4, first 2 shown]
	v_add_f64 v[73:74], v[37:38], v[49:50]
	v_add_f64 v[75:76], v[39:40], v[51:52]
	;; [unrolled: 1-line block ×6, first 2 shown]
	v_fma_f64 v[55:56], v[33:34], s[22:23], v[61:62]
	v_fma_f64 v[53:54], v[35:36], s[22:23], v[63:64]
	;; [unrolled: 1-line block ×4, first 2 shown]
	v_add_f64 v[5:6], v[29:30], v[43:44]
	v_add_f64 v[7:8], v[45:46], -v[31:32]
	v_add_f64 v[29:30], v[43:44], -v[29:30]
	v_add_f64 v[31:32], v[31:32], v[45:46]
	v_add_f64 v[39:40], v[51:52], -v[55:56]
	v_add_f64 v[37:38], v[53:54], v[49:50]
	;; [unrolled: 2-line block ×3, first 2 shown]
	v_add_f64 v[45:46], v[47:48], v[65:66]
	v_add_f64 v[47:48], v[67:68], -v[61:62]
	v_add_f64 v[49:50], v[49:50], -v[53:54]
	v_add_f64 v[51:52], v[55:56], v[51:52]
	v_add_f64 v[53:54], v[93:94], v[57:58]
	;; [unrolled: 1-line block ×5, first 2 shown]
	v_add_f64 v[65:66], v[101:102], -v[125:126]
	v_add_f64 v[67:68], v[103:104], -v[127:128]
	v_add_f64 v[77:78], v[109:110], v[117:118]
	v_add_f64 v[79:80], v[111:112], v[119:120]
	v_add_f64 v[81:82], v[117:118], -v[109:110]
	v_add_f64 v[83:84], v[119:120], -v[111:112]
	v_add_f64 v[89:90], v[61:62], v[53:54]
	v_add_f64 v[91:92], v[63:64], v[55:56]
	v_add_f64 v[57:58], v[93:94], -v[57:58]
	v_add_f64 v[59:60], v[95:96], -v[59:60]
	v_add_f64 v[93:94], v[61:62], -v[53:54]
	v_add_f64 v[95:96], v[63:64], -v[55:56]
	v_add_f64 v[97:98], v[53:54], -v[77:78]
	v_add_f64 v[99:100], v[55:56], -v[79:80]
	v_add_f64 v[61:62], v[77:78], -v[61:62]
	v_add_f64 v[63:64], v[79:80], -v[63:64]
	v_add_f64 v[53:54], v[81:82], v[65:66]
	v_add_f64 v[55:56], v[83:84], v[67:68]
	v_add_f64 v[101:102], v[81:82], -v[65:66]
	v_add_f64 v[103:104], v[83:84], -v[67:68]
	v_add_f64 v[77:78], v[77:78], v[89:90]
	v_add_f64 v[79:80], v[79:80], v[91:92]
	v_add_f64 v[65:66], v[65:66], -v[57:58]
	v_add_f64 v[67:68], v[67:68], -v[59:60]
	;; [unrolled: 1-line block ×4, first 2 shown]
	v_add_f64 v[57:58], v[53:54], v[57:58]
	v_add_f64 v[59:60], v[55:56], v[59:60]
	v_add_f64 v[53:54], v[85:86], v[77:78]
	v_add_f64 v[55:56], v[87:88], v[79:80]
	v_mul_f64 v[85:86], v[97:98], s[4:5]
	v_mul_f64 v[87:88], v[99:100], s[4:5]
	;; [unrolled: 1-line block ×8, first 2 shown]
	v_fma_f64 v[77:78], v[77:78], s[14:15], v[53:54]
	v_fma_f64 v[79:80], v[79:80], s[14:15], v[55:56]
	;; [unrolled: 1-line block ×4, first 2 shown]
	v_fma_f64 v[89:90], v[93:94], s[16:17], -v[89:90]
	v_fma_f64 v[91:92], v[95:96], s[16:17], -v[91:92]
	v_fma_f64 v[85:86], v[93:94], s[18:19], -v[85:86]
	v_fma_f64 v[87:88], v[95:96], s[18:19], -v[87:88]
	v_fma_f64 v[93:94], v[81:82], s[20:21], v[97:98]
	v_fma_f64 v[95:96], v[83:84], s[20:21], v[99:100]
	v_fma_f64 v[81:82], v[81:82], s[24:25], -v[101:102]
	v_fma_f64 v[83:84], v[83:84], s[24:25], -v[103:104]
	;; [unrolled: 1-line block ×4, first 2 shown]
	v_add_f64 v[97:98], v[61:62], v[77:78]
	v_add_f64 v[99:100], v[63:64], v[79:80]
	;; [unrolled: 1-line block ×6, first 2 shown]
	v_fma_f64 v[85:86], v[59:60], s[22:23], v[95:96]
	v_fma_f64 v[87:88], v[57:58], s[22:23], v[93:94]
	;; [unrolled: 1-line block ×8, first 2 shown]
	v_add_f64 v[61:62], v[85:86], v[97:98]
	v_add_f64 v[63:64], v[99:100], -v[87:88]
	v_add_f64 v[65:66], v[83:84], v[77:78]
	v_add_f64 v[67:68], v[79:80], -v[81:82]
	;; [unrolled: 2-line block ×3, first 2 shown]
	v_add_f64 v[57:58], v[73:74], -v[71:72]
	v_add_f64 v[59:60], v[69:70], v[75:76]
	v_add_f64 v[69:70], v[89:90], -v[93:94]
	v_add_f64 v[71:72], v[95:96], v[91:92]
	v_add_f64 v[73:74], v[93:94], v[89:90]
	v_add_f64 v[75:76], v[91:92], -v[95:96]
	v_add_f64 v[77:78], v[77:78], -v[83:84]
	v_add_f64 v[79:80], v[81:82], v[79:80]
	v_add_f64 v[81:82], v[97:98], -v[85:86]
	v_add_f64 v[83:84], v[87:88], v[99:100]
	ds_write_b128 v196, v[1:4]
	ds_write_b128 v196, v[5:8] offset:832
	ds_write_b128 v196, v[9:12] offset:1664
	;; [unrolled: 1-line block ×20, first 2 shown]
	v_lshlrev_b64 v[0:1], 4, v[156:157]
	v_mov_b32_e32 v52, s9
	v_add_co_u32_e32 v0, vcc, s8, v0
	v_addc_co_u32_e32 v1, vcc, v52, v1, vcc
	s_movk_i32 s2, 0x16a0
	v_add_co_u32_e32 v4, vcc, s2, v0
	v_addc_co_u32_e32 v5, vcc, 0, v1, vcc
	s_movk_i32 s3, 0x1000
	v_mov_b32_e32 v164, v157
	v_add_co_u32_e32 v0, vcc, s3, v0
	v_lshlrev_b64 v[8:9], 4, v[163:164]
	v_addc_co_u32_e32 v1, vcc, 0, v1, vcc
	v_add_co_u32_e32 v8, vcc, s8, v8
	v_addc_co_u32_e32 v9, vcc, v52, v9, vcc
	v_add_co_u32_e32 v16, vcc, s2, v8
	;; [unrolled: 2-line block ×3, first 2 shown]
	v_addc_co_u32_e32 v19, vcc, 0, v9, vcc
	v_mov_b32_e32 v163, v157
	s_waitcnt lgkmcnt(0)
	; wave barrier
	s_waitcnt lgkmcnt(0)
	global_load_dwordx4 v[0:3], v[0:1], off offset:1696
	s_nop 0
	global_load_dwordx4 v[4:7], v[4:5], off offset:16
	s_nop 0
	global_load_dwordx4 v[8:11], v[18:19], off offset:1696
	global_load_dwordx4 v[12:15], v[16:17], off offset:16
	v_lshlrev_b64 v[16:17], 4, v[162:163]
	v_mov_b32_e32 v162, v157
	v_add_co_u32_e32 v16, vcc, s8, v16
	v_addc_co_u32_e32 v17, vcc, v52, v17, vcc
	v_add_co_u32_e32 v24, vcc, s2, v16
	v_addc_co_u32_e32 v25, vcc, 0, v17, vcc
	v_add_co_u32_e32 v26, vcc, s3, v16
	v_addc_co_u32_e32 v27, vcc, 0, v17, vcc
	global_load_dwordx4 v[16:19], v[26:27], off offset:1696
	global_load_dwordx4 v[20:23], v[24:25], off offset:16
	v_lshlrev_b64 v[24:25], 4, v[161:162]
	v_mov_b32_e32 v161, v157
	v_add_co_u32_e32 v24, vcc, s8, v24
	v_addc_co_u32_e32 v25, vcc, v52, v25, vcc
	v_add_co_u32_e32 v32, vcc, s2, v24
	v_addc_co_u32_e32 v33, vcc, 0, v25, vcc
	v_add_co_u32_e32 v34, vcc, s3, v24
	v_addc_co_u32_e32 v35, vcc, 0, v25, vcc
	;; [unrolled: 10-line block ×4, first 2 shown]
	global_load_dwordx4 v[40:43], v[50:51], off offset:1696
	global_load_dwordx4 v[44:47], v[48:49], off offset:16
	v_lshlrev_b64 v[48:49], 4, v[158:159]
	s_mov_b32 s5, 0x3febb67a
	v_add_co_u32_e32 v53, vcc, s8, v48
	v_addc_co_u32_e32 v54, vcc, v52, v49, vcc
	v_add_co_u32_e32 v48, vcc, s3, v53
	v_addc_co_u32_e32 v49, vcc, 0, v54, vcc
	;; [unrolled: 2-line block ×3, first 2 shown]
	global_load_dwordx4 v[48:51], v[48:49], off offset:1696
	s_mov_b32 s2, 0xe8584caa
	global_load_dwordx4 v[52:55], v[52:53], off offset:16
	ds_read_b128 v[56:59], v196 offset:5824
	ds_read_b128 v[60:63], v196
	ds_read_b128 v[64:67], v196 offset:832
	ds_read_b128 v[68:71], v196 offset:11648
	;; [unrolled: 1-line block ×16, first 2 shown]
	s_waitcnt vmcnt(13) lgkmcnt(14)
	v_mul_f64 v[140:141], v[58:59], v[2:3]
	v_mul_f64 v[2:3], v[56:57], v[2:3]
	s_waitcnt vmcnt(12)
	v_mul_f64 v[142:143], v[70:71], v[6:7]
	v_mul_f64 v[6:7], v[68:69], v[6:7]
	s_waitcnt vmcnt(11) lgkmcnt(12)
	v_mul_f64 v[144:145], v[78:79], v[10:11]
	v_mul_f64 v[10:11], v[76:77], v[10:11]
	ds_read_b128 v[128:131], v196 offset:9984
	ds_read_b128 v[132:135], v196 offset:10816
	;; [unrolled: 1-line block ×3, first 2 shown]
	v_fma_f64 v[56:57], v[56:57], v[0:1], v[140:141]
	v_fma_f64 v[2:3], v[58:59], v[0:1], -v[2:3]
	s_waitcnt vmcnt(10)
	v_mul_f64 v[0:1], v[74:75], v[14:15]
	v_fma_f64 v[58:59], v[68:69], v[4:5], v[142:143]
	v_fma_f64 v[6:7], v[70:71], v[4:5], -v[6:7]
	v_fma_f64 v[68:69], v[76:77], v[8:9], v[144:145]
	v_mul_f64 v[4:5], v[72:73], v[14:15]
	v_fma_f64 v[14:15], v[78:79], v[8:9], -v[10:11]
	s_waitcnt vmcnt(9) lgkmcnt(14)
	v_mul_f64 v[8:9], v[82:83], v[18:19]
	v_mul_f64 v[10:11], v[80:81], v[18:19]
	v_fma_f64 v[18:19], v[72:73], v[12:13], v[0:1]
	s_waitcnt vmcnt(8) lgkmcnt(11)
	v_mul_f64 v[0:1], v[94:95], v[22:23]
	v_mul_f64 v[22:23], v[92:93], v[22:23]
	s_mov_b32 s3, 0xbfebb67a
	v_fma_f64 v[72:73], v[74:75], v[12:13], -v[4:5]
	s_mov_b32 s4, s2
	s_waitcnt lgkmcnt(0)
	v_fma_f64 v[74:75], v[82:83], v[16:17], -v[10:11]
	; wave barrier
	v_fma_f64 v[76:77], v[92:93], v[20:21], v[0:1]
	v_fma_f64 v[78:79], v[94:95], v[20:21], -v[22:23]
	v_add_f64 v[20:21], v[2:3], -v[6:7]
	s_waitcnt vmcnt(7)
	v_mul_f64 v[70:71], v[102:103], v[26:27]
	v_mul_f64 v[4:5], v[100:101], v[26:27]
	v_fma_f64 v[26:27], v[80:81], v[16:17], v[8:9]
	s_waitcnt vmcnt(6)
	v_mul_f64 v[8:9], v[98:99], v[30:31]
	v_mul_f64 v[0:1], v[96:97], v[30:31]
	v_add_f64 v[22:23], v[56:57], -v[58:59]
	v_add_f64 v[30:31], v[14:15], -v[72:73]
	v_fma_f64 v[70:71], v[100:101], v[24:25], v[70:71]
	v_fma_f64 v[80:81], v[102:103], v[24:25], -v[4:5]
	v_add_f64 v[24:25], v[14:15], v[72:73]
	v_fma_f64 v[82:83], v[96:97], v[28:29], v[8:9]
	v_add_f64 v[14:15], v[66:67], v[14:15]
	s_waitcnt vmcnt(5)
	v_mul_f64 v[4:5], v[106:107], v[34:35]
	v_mul_f64 v[10:11], v[104:105], v[34:35]
	s_waitcnt vmcnt(4)
	v_mul_f64 v[8:9], v[118:119], v[38:39]
	v_mul_f64 v[12:13], v[116:117], v[38:39]
	v_fma_f64 v[38:39], v[98:99], v[28:29], -v[0:1]
	v_fma_f64 v[24:25], v[24:25], -0.5, v[66:67]
	v_add_f64 v[14:15], v[14:15], v[72:73]
	v_fma_f64 v[92:93], v[104:105], v[32:33], v[4:5]
	v_fma_f64 v[94:95], v[106:107], v[32:33], -v[10:11]
	v_fma_f64 v[96:97], v[116:117], v[36:37], v[8:9]
	v_fma_f64 v[98:99], v[118:119], v[36:37], -v[12:13]
	v_add_f64 v[10:11], v[56:57], v[58:59]
	v_add_f64 v[32:33], v[68:69], -v[18:19]
	v_add_f64 v[36:37], v[74:75], -v[78:79]
	s_waitcnt vmcnt(3)
	v_mul_f64 v[16:17], v[130:131], v[42:43]
	v_mul_f64 v[0:1], v[128:129], v[42:43]
	s_waitcnt vmcnt(2)
	v_mul_f64 v[4:5], v[122:123], v[46:47]
	v_mul_f64 v[8:9], v[120:121], v[46:47]
	v_add_f64 v[42:43], v[70:71], v[82:83]
	v_fma_f64 v[10:11], v[10:11], -0.5, v[60:61]
	v_add_f64 v[46:47], v[26:27], -v[76:77]
	v_fma_f64 v[100:101], v[128:129], v[40:41], v[16:17]
	v_fma_f64 v[102:103], v[130:131], v[40:41], -v[0:1]
	v_fma_f64 v[104:105], v[120:121], v[44:45], v[4:5]
	v_fma_f64 v[106:107], v[122:123], v[44:45], -v[8:9]
	v_add_f64 v[8:9], v[60:61], v[56:57]
	v_add_f64 v[40:41], v[86:87], v[74:75]
	v_fma_f64 v[42:43], v[42:43], -0.5, v[88:89]
	s_waitcnt vmcnt(1)
	v_mul_f64 v[0:1], v[134:135], v[50:51]
	v_mul_f64 v[4:5], v[132:133], v[50:51]
	s_waitcnt vmcnt(0)
	v_mul_f64 v[12:13], v[138:139], v[54:55]
	v_mul_f64 v[16:17], v[136:137], v[54:55]
	v_add_f64 v[50:51], v[90:91], v[80:81]
	v_add_f64 v[54:55], v[70:71], -v[82:83]
	v_add_f64 v[60:61], v[100:101], v[104:105]
	v_add_f64 v[66:67], v[112:113], v[100:101]
	v_fma_f64 v[116:117], v[132:133], v[48:49], v[0:1]
	v_fma_f64 v[118:119], v[134:135], v[48:49], -v[4:5]
	v_fma_f64 v[120:121], v[136:137], v[52:53], v[12:13]
	v_fma_f64 v[122:123], v[138:139], v[52:53], -v[16:17]
	v_add_f64 v[12:13], v[2:3], v[6:7]
	v_add_f64 v[16:17], v[68:69], v[18:19]
	;; [unrolled: 1-line block ×3, first 2 shown]
	v_fma_f64 v[4:5], v[20:21], s[2:3], v[10:11]
	v_add_f64 v[2:3], v[62:63], v[2:3]
	v_fma_f64 v[8:9], v[20:21], s[4:5], v[10:11]
	v_add_f64 v[20:21], v[64:65], v[68:69]
	v_add_f64 v[48:49], v[80:81], -v[38:39]
	v_fma_f64 v[12:13], v[12:13], -0.5, v[62:63]
	v_fma_f64 v[28:29], v[16:17], -0.5, v[64:65]
	v_add_f64 v[58:59], v[94:95], -v[98:99]
	v_add_f64 v[64:65], v[92:93], -v[96:97]
	v_add_f64 v[2:3], v[2:3], v[6:7]
	v_fma_f64 v[68:69], v[60:61], -0.5, v[112:113]
	v_add_f64 v[72:73], v[102:103], v[106:107]
	v_add_f64 v[60:61], v[66:67], v[104:105]
	v_fma_f64 v[6:7], v[22:23], s[4:5], v[12:13]
	v_fma_f64 v[10:11], v[22:23], s[2:3], v[12:13]
	v_add_f64 v[12:13], v[20:21], v[18:19]
	v_add_f64 v[22:23], v[26:27], v[76:77]
	v_fma_f64 v[16:17], v[30:31], s[2:3], v[28:29]
	v_fma_f64 v[20:21], v[30:31], s[4:5], v[28:29]
	v_add_f64 v[30:31], v[74:75], v[78:79]
	v_add_f64 v[28:29], v[84:85], v[26:27]
	;; [unrolled: 1-line block ×4, first 2 shown]
	v_fma_f64 v[18:19], v[32:33], s[4:5], v[24:25]
	v_fma_f64 v[34:35], v[22:23], -0.5, v[84:85]
	v_fma_f64 v[22:23], v[32:33], s[2:3], v[24:25]
	v_add_f64 v[38:39], v[50:51], v[38:39]
	v_fma_f64 v[44:45], v[30:31], -0.5, v[86:87]
	v_add_f64 v[24:25], v[28:29], v[76:77]
	v_add_f64 v[50:51], v[108:109], v[92:93]
	v_fma_f64 v[52:53], v[40:41], -0.5, v[90:91]
	v_fma_f64 v[40:41], v[48:49], s[2:3], v[42:43]
	v_fma_f64 v[28:29], v[36:37], s[2:3], v[34:35]
	;; [unrolled: 1-line block ×3, first 2 shown]
	v_add_f64 v[36:37], v[88:89], v[70:71]
	v_fma_f64 v[30:31], v[46:47], s[4:5], v[44:45]
	v_fma_f64 v[34:35], v[46:47], s[2:3], v[44:45]
	v_add_f64 v[46:47], v[92:93], v[96:97]
	v_fma_f64 v[44:45], v[48:49], s[4:5], v[42:43]
	v_add_f64 v[48:49], v[94:95], v[98:99]
	v_fma_f64 v[42:43], v[54:55], s[4:5], v[52:53]
	v_add_f64 v[70:71], v[102:103], -v[106:107]
	v_add_f64 v[66:67], v[118:119], v[122:123]
	v_add_f64 v[36:37], v[36:37], v[82:83]
	v_fma_f64 v[72:73], v[72:73], -0.5, v[114:115]
	v_fma_f64 v[56:57], v[46:47], -0.5, v[108:109]
	v_fma_f64 v[46:47], v[54:55], s[2:3], v[52:53]
	v_add_f64 v[54:55], v[110:111], v[94:95]
	v_fma_f64 v[62:63], v[48:49], -0.5, v[110:111]
	v_add_f64 v[48:49], v[50:51], v[96:97]
	v_add_f64 v[74:75], v[100:101], -v[104:105]
	v_add_f64 v[76:77], v[124:125], v[116:117]
	v_add_f64 v[80:81], v[118:119], -v[122:123]
	v_fma_f64 v[52:53], v[58:59], s[2:3], v[56:57]
	v_fma_f64 v[56:57], v[58:59], s[4:5], v[56:57]
	v_add_f64 v[50:51], v[54:55], v[98:99]
	v_fma_f64 v[54:55], v[64:65], s[4:5], v[62:63]
	v_fma_f64 v[58:59], v[64:65], s[2:3], v[62:63]
	v_add_f64 v[62:63], v[116:117], v[120:121]
	;; [unrolled: 3-line block ×3, first 2 shown]
	v_add_f64 v[82:83], v[126:127], v[118:119]
	v_fma_f64 v[84:85], v[66:67], -0.5, v[126:127]
	v_add_f64 v[86:87], v[116:117], -v[120:121]
	v_fma_f64 v[66:67], v[74:75], s[4:5], v[72:73]
	v_fma_f64 v[78:79], v[62:63], -0.5, v[124:125]
	v_add_f64 v[62:63], v[70:71], v[106:107]
	v_fma_f64 v[70:71], v[74:75], s[2:3], v[72:73]
	v_add_f64 v[72:73], v[76:77], v[120:121]
	v_add_f64 v[74:75], v[82:83], v[122:123]
	v_fma_f64 v[82:83], v[86:87], s[2:3], v[84:85]
	v_fma_f64 v[76:77], v[80:81], s[2:3], v[78:79]
	;; [unrolled: 1-line block ×4, first 2 shown]
	ds_write_b128 v196, v[0:3]
	ds_write_b128 v196, v[4:7] offset:5824
	ds_write_b128 v196, v[8:11] offset:11648
	;; [unrolled: 1-line block ×20, first 2 shown]
	s_waitcnt lgkmcnt(0)
	; wave barrier
	s_waitcnt lgkmcnt(0)
	s_and_saveexec_b64 s[2:3], s[0:1]
	s_cbranch_execz .LBB0_31
; %bb.30:
	v_lshl_add_u32 v10, v152, 4, 0
	v_mov_b32_e32 v153, v157
	ds_read_b128 v[0:3], v10
	v_mov_b32_e32 v4, s13
	v_add_co_u32_e32 v11, vcc, s12, v154
	v_addc_co_u32_e32 v12, vcc, v4, v155, vcc
	v_lshlrev_b64 v[4:5], 4, v[152:153]
	v_add_u32_e32 v156, 52, v152
	v_add_co_u32_e32 v8, vcc, v11, v4
	v_addc_co_u32_e32 v9, vcc, v12, v5, vcc
	ds_read_b128 v[4:7], v10 offset:832
	s_waitcnt lgkmcnt(1)
	global_store_dwordx4 v[8:9], v[0:3], off
	s_nop 0
	v_lshlrev_b64 v[0:1], 4, v[156:157]
	v_add_u32_e32 v156, 0x68, v152
	v_add_co_u32_e32 v0, vcc, v11, v0
	v_addc_co_u32_e32 v1, vcc, v12, v1, vcc
	s_waitcnt lgkmcnt(0)
	global_store_dwordx4 v[0:1], v[4:7], off
	ds_read_b128 v[0:3], v10 offset:1664
	v_lshlrev_b64 v[4:5], 4, v[156:157]
	v_add_u32_e32 v156, 0x9c, v152
	v_add_co_u32_e32 v8, vcc, v11, v4
	v_addc_co_u32_e32 v9, vcc, v12, v5, vcc
	ds_read_b128 v[4:7], v10 offset:2496
	s_waitcnt lgkmcnt(1)
	global_store_dwordx4 v[8:9], v[0:3], off
	s_nop 0
	v_lshlrev_b64 v[0:1], 4, v[156:157]
	v_add_u32_e32 v156, 0xd0, v152
	v_add_co_u32_e32 v0, vcc, v11, v0
	v_addc_co_u32_e32 v1, vcc, v12, v1, vcc
	s_waitcnt lgkmcnt(0)
	global_store_dwordx4 v[0:1], v[4:7], off
	ds_read_b128 v[0:3], v10 offset:3328
	;; [unrolled: 15-line block ×10, first 2 shown]
	v_lshlrev_b64 v[4:5], 4, v[156:157]
	v_add_co_u32_e32 v4, vcc, v11, v4
	v_addc_co_u32_e32 v5, vcc, v12, v5, vcc
	s_waitcnt lgkmcnt(0)
	global_store_dwordx4 v[4:5], v[0:3], off
.LBB0_31:
	s_endpgm
	.section	.rodata,"a",@progbits
	.p2align	6, 0x0
	.amdhsa_kernel fft_rtc_back_len1092_factors_2_2_13_7_3_wgs_52_tpt_52_halfLds_dp_ip_CI_unitstride_sbrr_C2R_dirReg
		.amdhsa_group_segment_fixed_size 0
		.amdhsa_private_segment_fixed_size 0
		.amdhsa_kernarg_size 88
		.amdhsa_user_sgpr_count 6
		.amdhsa_user_sgpr_private_segment_buffer 1
		.amdhsa_user_sgpr_dispatch_ptr 0
		.amdhsa_user_sgpr_queue_ptr 0
		.amdhsa_user_sgpr_kernarg_segment_ptr 1
		.amdhsa_user_sgpr_dispatch_id 0
		.amdhsa_user_sgpr_flat_scratch_init 0
		.amdhsa_user_sgpr_private_segment_size 0
		.amdhsa_uses_dynamic_stack 0
		.amdhsa_system_sgpr_private_segment_wavefront_offset 0
		.amdhsa_system_sgpr_workgroup_id_x 1
		.amdhsa_system_sgpr_workgroup_id_y 0
		.amdhsa_system_sgpr_workgroup_id_z 0
		.amdhsa_system_sgpr_workgroup_info 0
		.amdhsa_system_vgpr_workitem_id 0
		.amdhsa_next_free_vgpr 244
		.amdhsa_next_free_sgpr 46
		.amdhsa_reserve_vcc 1
		.amdhsa_reserve_flat_scratch 0
		.amdhsa_float_round_mode_32 0
		.amdhsa_float_round_mode_16_64 0
		.amdhsa_float_denorm_mode_32 3
		.amdhsa_float_denorm_mode_16_64 3
		.amdhsa_dx10_clamp 1
		.amdhsa_ieee_mode 1
		.amdhsa_fp16_overflow 0
		.amdhsa_exception_fp_ieee_invalid_op 0
		.amdhsa_exception_fp_denorm_src 0
		.amdhsa_exception_fp_ieee_div_zero 0
		.amdhsa_exception_fp_ieee_overflow 0
		.amdhsa_exception_fp_ieee_underflow 0
		.amdhsa_exception_fp_ieee_inexact 0
		.amdhsa_exception_int_div_zero 0
	.end_amdhsa_kernel
	.text
.Lfunc_end0:
	.size	fft_rtc_back_len1092_factors_2_2_13_7_3_wgs_52_tpt_52_halfLds_dp_ip_CI_unitstride_sbrr_C2R_dirReg, .Lfunc_end0-fft_rtc_back_len1092_factors_2_2_13_7_3_wgs_52_tpt_52_halfLds_dp_ip_CI_unitstride_sbrr_C2R_dirReg
                                        ; -- End function
	.section	.AMDGPU.csdata,"",@progbits
; Kernel info:
; codeLenInByte = 20232
; NumSgprs: 50
; NumVgprs: 244
; ScratchSize: 0
; MemoryBound: 0
; FloatMode: 240
; IeeeMode: 1
; LDSByteSize: 0 bytes/workgroup (compile time only)
; SGPRBlocks: 6
; VGPRBlocks: 60
; NumSGPRsForWavesPerEU: 50
; NumVGPRsForWavesPerEU: 244
; Occupancy: 1
; WaveLimiterHint : 1
; COMPUTE_PGM_RSRC2:SCRATCH_EN: 0
; COMPUTE_PGM_RSRC2:USER_SGPR: 6
; COMPUTE_PGM_RSRC2:TRAP_HANDLER: 0
; COMPUTE_PGM_RSRC2:TGID_X_EN: 1
; COMPUTE_PGM_RSRC2:TGID_Y_EN: 0
; COMPUTE_PGM_RSRC2:TGID_Z_EN: 0
; COMPUTE_PGM_RSRC2:TIDIG_COMP_CNT: 0
	.type	__hip_cuid_bdc4673b897a3c9f,@object ; @__hip_cuid_bdc4673b897a3c9f
	.section	.bss,"aw",@nobits
	.globl	__hip_cuid_bdc4673b897a3c9f
__hip_cuid_bdc4673b897a3c9f:
	.byte	0                               ; 0x0
	.size	__hip_cuid_bdc4673b897a3c9f, 1

	.ident	"AMD clang version 19.0.0git (https://github.com/RadeonOpenCompute/llvm-project roc-6.4.0 25133 c7fe45cf4b819c5991fe208aaa96edf142730f1d)"
	.section	".note.GNU-stack","",@progbits
	.addrsig
	.addrsig_sym __hip_cuid_bdc4673b897a3c9f
	.amdgpu_metadata
---
amdhsa.kernels:
  - .args:
      - .actual_access:  read_only
        .address_space:  global
        .offset:         0
        .size:           8
        .value_kind:     global_buffer
      - .offset:         8
        .size:           8
        .value_kind:     by_value
      - .actual_access:  read_only
        .address_space:  global
        .offset:         16
        .size:           8
        .value_kind:     global_buffer
      - .actual_access:  read_only
        .address_space:  global
        .offset:         24
        .size:           8
        .value_kind:     global_buffer
      - .offset:         32
        .size:           8
        .value_kind:     by_value
      - .actual_access:  read_only
        .address_space:  global
        .offset:         40
        .size:           8
        .value_kind:     global_buffer
      - .actual_access:  read_only
        .address_space:  global
        .offset:         48
        .size:           8
        .value_kind:     global_buffer
      - .offset:         56
        .size:           4
        .value_kind:     by_value
      - .actual_access:  read_only
        .address_space:  global
        .offset:         64
        .size:           8
        .value_kind:     global_buffer
      - .actual_access:  read_only
        .address_space:  global
        .offset:         72
        .size:           8
        .value_kind:     global_buffer
      - .address_space:  global
        .offset:         80
        .size:           8
        .value_kind:     global_buffer
    .group_segment_fixed_size: 0
    .kernarg_segment_align: 8
    .kernarg_segment_size: 88
    .language:       OpenCL C
    .language_version:
      - 2
      - 0
    .max_flat_workgroup_size: 52
    .name:           fft_rtc_back_len1092_factors_2_2_13_7_3_wgs_52_tpt_52_halfLds_dp_ip_CI_unitstride_sbrr_C2R_dirReg
    .private_segment_fixed_size: 0
    .sgpr_count:     50
    .sgpr_spill_count: 0
    .symbol:         fft_rtc_back_len1092_factors_2_2_13_7_3_wgs_52_tpt_52_halfLds_dp_ip_CI_unitstride_sbrr_C2R_dirReg.kd
    .uniform_work_group_size: 1
    .uses_dynamic_stack: false
    .vgpr_count:     244
    .vgpr_spill_count: 0
    .wavefront_size: 64
amdhsa.target:   amdgcn-amd-amdhsa--gfx906
amdhsa.version:
  - 1
  - 2
...

	.end_amdgpu_metadata
